;; amdgpu-corpus repo=ROCm/rocFFT kind=compiled arch=gfx950 opt=O3
	.text
	.amdgcn_target "amdgcn-amd-amdhsa--gfx950"
	.amdhsa_code_object_version 6
	.protected	fft_rtc_back_len2025_factors_3_3_5_5_3_3_wgs_135_tpt_135_halfLds_sp_ip_CI_unitstride_sbrr_dirReg ; -- Begin function fft_rtc_back_len2025_factors_3_3_5_5_3_3_wgs_135_tpt_135_halfLds_sp_ip_CI_unitstride_sbrr_dirReg
	.globl	fft_rtc_back_len2025_factors_3_3_5_5_3_3_wgs_135_tpt_135_halfLds_sp_ip_CI_unitstride_sbrr_dirReg
	.p2align	8
	.type	fft_rtc_back_len2025_factors_3_3_5_5_3_3_wgs_135_tpt_135_halfLds_sp_ip_CI_unitstride_sbrr_dirReg,@function
fft_rtc_back_len2025_factors_3_3_5_5_3_3_wgs_135_tpt_135_halfLds_sp_ip_CI_unitstride_sbrr_dirReg: ; @fft_rtc_back_len2025_factors_3_3_5_5_3_3_wgs_135_tpt_135_halfLds_sp_ip_CI_unitstride_sbrr_dirReg
; %bb.0:
	s_load_dwordx2 s[8:9], s[0:1], 0x50
	s_load_dwordx4 s[4:7], s[0:1], 0x0
	s_load_dwordx2 s[10:11], s[0:1], 0x18
	v_mul_u32_u24_e32 v1, 0x1e6, v0
	v_add_u32_sdwa v6, s2, v1 dst_sel:DWORD dst_unused:UNUSED_PAD src0_sel:DWORD src1_sel:WORD_1
	v_mov_b32_e32 v4, 0
	s_waitcnt lgkmcnt(0)
	v_cmp_lt_u64_e64 s[2:3], s[6:7], 2
	v_mov_b32_e32 v7, v4
	s_and_b64 vcc, exec, s[2:3]
	v_mov_b64_e32 v[2:3], 0
	s_cbranch_vccnz .LBB0_8
; %bb.1:
	s_load_dwordx2 s[2:3], s[0:1], 0x10
	s_add_u32 s12, s10, 8
	s_addc_u32 s13, s11, 0
	s_mov_b64 s[14:15], 1
	v_mov_b64_e32 v[2:3], 0
	s_waitcnt lgkmcnt(0)
	s_add_u32 s16, s2, 8
	s_addc_u32 s17, s3, 0
.LBB0_2:                                ; =>This Inner Loop Header: Depth=1
	s_load_dwordx2 s[18:19], s[16:17], 0x0
                                        ; implicit-def: $vgpr8_vgpr9
	s_waitcnt lgkmcnt(0)
	v_or_b32_e32 v5, s19, v7
	v_cmp_ne_u64_e32 vcc, 0, v[4:5]
	s_and_saveexec_b64 s[2:3], vcc
	s_xor_b64 s[20:21], exec, s[2:3]
	s_cbranch_execz .LBB0_4
; %bb.3:                                ;   in Loop: Header=BB0_2 Depth=1
	v_cvt_f32_u32_e32 v1, s18
	v_cvt_f32_u32_e32 v5, s19
	s_sub_u32 s2, 0, s18
	s_subb_u32 s3, 0, s19
	v_fmac_f32_e32 v1, 0x4f800000, v5
	v_rcp_f32_e32 v1, v1
	s_nop 0
	v_mul_f32_e32 v1, 0x5f7ffffc, v1
	v_mul_f32_e32 v5, 0x2f800000, v1
	v_trunc_f32_e32 v5, v5
	v_fmac_f32_e32 v1, 0xcf800000, v5
	v_cvt_u32_f32_e32 v5, v5
	v_cvt_u32_f32_e32 v1, v1
	v_mul_lo_u32 v8, s2, v5
	v_mul_hi_u32 v10, s2, v1
	v_mul_lo_u32 v9, s3, v1
	v_add_u32_e32 v10, v10, v8
	v_mul_lo_u32 v12, s2, v1
	v_add_u32_e32 v13, v10, v9
	v_mul_hi_u32 v8, v1, v12
	v_mul_hi_u32 v11, v1, v13
	v_mul_lo_u32 v10, v1, v13
	v_mov_b32_e32 v9, v4
	v_lshl_add_u64 v[8:9], v[8:9], 0, v[10:11]
	v_mul_hi_u32 v11, v5, v12
	v_mul_lo_u32 v12, v5, v12
	v_add_co_u32_e32 v8, vcc, v8, v12
	v_mul_hi_u32 v10, v5, v13
	s_nop 0
	v_addc_co_u32_e32 v8, vcc, v9, v11, vcc
	v_mov_b32_e32 v9, v4
	s_nop 0
	v_addc_co_u32_e32 v11, vcc, 0, v10, vcc
	v_mul_lo_u32 v10, v5, v13
	v_lshl_add_u64 v[8:9], v[8:9], 0, v[10:11]
	v_add_co_u32_e32 v1, vcc, v1, v8
	v_mul_lo_u32 v10, s2, v1
	s_nop 0
	v_addc_co_u32_e32 v5, vcc, v5, v9, vcc
	v_mul_lo_u32 v8, s2, v5
	v_mul_hi_u32 v9, s2, v1
	v_add_u32_e32 v8, v9, v8
	v_mul_lo_u32 v9, s3, v1
	v_add_u32_e32 v12, v8, v9
	v_mul_hi_u32 v14, v5, v10
	v_mul_lo_u32 v15, v5, v10
	v_mul_hi_u32 v9, v1, v12
	v_mul_lo_u32 v8, v1, v12
	v_mul_hi_u32 v10, v1, v10
	v_mov_b32_e32 v11, v4
	v_lshl_add_u64 v[8:9], v[10:11], 0, v[8:9]
	v_add_co_u32_e32 v8, vcc, v8, v15
	v_mul_hi_u32 v13, v5, v12
	s_nop 0
	v_addc_co_u32_e32 v8, vcc, v9, v14, vcc
	v_mul_lo_u32 v10, v5, v12
	s_nop 0
	v_addc_co_u32_e32 v11, vcc, 0, v13, vcc
	v_mov_b32_e32 v9, v4
	v_lshl_add_u64 v[8:9], v[8:9], 0, v[10:11]
	v_add_co_u32_e32 v1, vcc, v1, v8
	v_mul_hi_u32 v10, v6, v1
	s_nop 0
	v_addc_co_u32_e32 v5, vcc, v5, v9, vcc
	v_mad_u64_u32 v[8:9], s[2:3], v6, v5, 0
	v_mov_b32_e32 v11, v4
	v_lshl_add_u64 v[8:9], v[10:11], 0, v[8:9]
	v_mad_u64_u32 v[12:13], s[2:3], v7, v1, 0
	v_add_co_u32_e32 v1, vcc, v8, v12
	v_mad_u64_u32 v[10:11], s[2:3], v7, v5, 0
	s_nop 0
	v_addc_co_u32_e32 v8, vcc, v9, v13, vcc
	v_mov_b32_e32 v9, v4
	s_nop 0
	v_addc_co_u32_e32 v11, vcc, 0, v11, vcc
	v_lshl_add_u64 v[8:9], v[8:9], 0, v[10:11]
	v_mul_lo_u32 v1, s19, v8
	v_mul_lo_u32 v5, s18, v9
	v_mad_u64_u32 v[10:11], s[2:3], s18, v8, 0
	v_add3_u32 v1, v11, v5, v1
	v_sub_u32_e32 v5, v7, v1
	v_mov_b32_e32 v11, s19
	v_sub_co_u32_e32 v14, vcc, v6, v10
	v_lshl_add_u64 v[12:13], v[8:9], 0, 1
	s_nop 0
	v_subb_co_u32_e64 v5, s[2:3], v5, v11, vcc
	v_subrev_co_u32_e64 v10, s[2:3], s18, v14
	v_subb_co_u32_e32 v1, vcc, v7, v1, vcc
	s_nop 0
	v_subbrev_co_u32_e64 v5, s[2:3], 0, v5, s[2:3]
	v_cmp_le_u32_e64 s[2:3], s19, v5
	v_cmp_le_u32_e32 vcc, s19, v1
	s_nop 0
	v_cndmask_b32_e64 v11, 0, -1, s[2:3]
	v_cmp_le_u32_e64 s[2:3], s18, v10
	s_nop 1
	v_cndmask_b32_e64 v10, 0, -1, s[2:3]
	v_cmp_eq_u32_e64 s[2:3], s19, v5
	s_nop 1
	v_cndmask_b32_e64 v5, v11, v10, s[2:3]
	v_lshl_add_u64 v[10:11], v[8:9], 0, 2
	v_cmp_ne_u32_e64 s[2:3], 0, v5
	s_nop 1
	v_cndmask_b32_e64 v5, v13, v11, s[2:3]
	v_cndmask_b32_e64 v11, 0, -1, vcc
	v_cmp_le_u32_e32 vcc, s18, v14
	s_nop 1
	v_cndmask_b32_e64 v13, 0, -1, vcc
	v_cmp_eq_u32_e32 vcc, s19, v1
	s_nop 1
	v_cndmask_b32_e32 v1, v11, v13, vcc
	v_cmp_ne_u32_e32 vcc, 0, v1
	v_cndmask_b32_e64 v1, v12, v10, s[2:3]
	s_nop 0
	v_cndmask_b32_e32 v9, v9, v5, vcc
	v_cndmask_b32_e32 v8, v8, v1, vcc
.LBB0_4:                                ;   in Loop: Header=BB0_2 Depth=1
	s_andn2_saveexec_b64 s[2:3], s[20:21]
	s_cbranch_execz .LBB0_6
; %bb.5:                                ;   in Loop: Header=BB0_2 Depth=1
	v_cvt_f32_u32_e32 v1, s18
	s_sub_i32 s20, 0, s18
	v_rcp_iflag_f32_e32 v1, v1
	s_nop 0
	v_mul_f32_e32 v1, 0x4f7ffffe, v1
	v_cvt_u32_f32_e32 v1, v1
	v_mul_lo_u32 v5, s20, v1
	v_mul_hi_u32 v5, v1, v5
	v_add_u32_e32 v1, v1, v5
	v_mul_hi_u32 v1, v6, v1
	v_mul_lo_u32 v5, v1, s18
	v_sub_u32_e32 v5, v6, v5
	v_add_u32_e32 v8, 1, v1
	v_subrev_u32_e32 v9, s18, v5
	v_cmp_le_u32_e32 vcc, s18, v5
	s_nop 1
	v_cndmask_b32_e32 v5, v5, v9, vcc
	v_cndmask_b32_e32 v1, v1, v8, vcc
	v_add_u32_e32 v8, 1, v1
	v_cmp_le_u32_e32 vcc, s18, v5
	v_mov_b32_e32 v9, v4
	s_nop 0
	v_cndmask_b32_e32 v8, v1, v8, vcc
.LBB0_6:                                ;   in Loop: Header=BB0_2 Depth=1
	s_or_b64 exec, exec, s[2:3]
	v_mad_u64_u32 v[10:11], s[2:3], v8, s18, 0
	s_load_dwordx2 s[2:3], s[12:13], 0x0
	v_mul_lo_u32 v1, v9, s18
	v_mul_lo_u32 v5, v8, s19
	v_add3_u32 v1, v11, v5, v1
	v_sub_co_u32_e32 v5, vcc, v6, v10
	s_add_u32 s14, s14, 1
	s_nop 0
	v_subb_co_u32_e32 v1, vcc, v7, v1, vcc
	s_addc_u32 s15, s15, 0
	s_waitcnt lgkmcnt(0)
	v_mul_lo_u32 v1, s2, v1
	v_mul_lo_u32 v6, s3, v5
	v_mad_u64_u32 v[2:3], s[2:3], s2, v5, v[2:3]
	s_add_u32 s12, s12, 8
	v_add3_u32 v3, v6, v3, v1
	s_addc_u32 s13, s13, 0
	v_mov_b64_e32 v[6:7], s[6:7]
	s_add_u32 s16, s16, 8
	v_cmp_ge_u64_e32 vcc, s[14:15], v[6:7]
	s_addc_u32 s17, s17, 0
	s_cbranch_vccnz .LBB0_9
; %bb.7:                                ;   in Loop: Header=BB0_2 Depth=1
	v_mov_b64_e32 v[6:7], v[8:9]
	s_branch .LBB0_2
.LBB0_8:
	v_mov_b64_e32 v[8:9], v[6:7]
.LBB0_9:
	s_lshl_b64 s[2:3], s[6:7], 3
	s_add_u32 s2, s10, s2
	s_addc_u32 s3, s11, s3
	s_load_dwordx2 s[6:7], s[2:3], 0x0
	s_load_dwordx2 s[10:11], s[0:1], 0x20
	s_mov_b32 s2, 0x1e573ad
                                        ; implicit-def: $vgpr6
                                        ; implicit-def: $vgpr28
                                        ; implicit-def: $vgpr20
                                        ; implicit-def: $vgpr10
                                        ; implicit-def: $vgpr34
                                        ; implicit-def: $vgpr22
                                        ; implicit-def: $vgpr14
                                        ; implicit-def: $vgpr12
                                        ; implicit-def: $vgpr36
                                        ; implicit-def: $vgpr32
                                        ; implicit-def: $vgpr42
                                        ; implicit-def: $vgpr30
                                        ; implicit-def: $vgpr24
                                        ; implicit-def: $vgpr26
                                        ; implicit-def: $vgpr44
                                        ; implicit-def: $vgpr38
	s_waitcnt lgkmcnt(0)
	v_mul_lo_u32 v1, s6, v9
	v_mul_lo_u32 v4, s7, v8
	v_mad_u64_u32 v[2:3], s[0:1], s6, v8, v[2:3]
	v_add3_u32 v3, v4, v3, v1
	v_mul_hi_u32 v1, v0, s2
	v_mul_u32_u24_e32 v1, 0x87, v1
	v_cmp_gt_u64_e64 s[0:1], s[10:11], v[8:9]
	v_sub_u32_e32 v18, v0, v1
	v_lshl_add_u64 v[16:17], v[2:3], 3, s[8:9]
                                        ; implicit-def: $vgpr4
                                        ; implicit-def: $vgpr8
                                        ; implicit-def: $vgpr0
                                        ; implicit-def: $vgpr2
	s_and_saveexec_b64 s[2:3], s[0:1]
	s_cbranch_execz .LBB0_11
; %bb.10:
	v_mov_b32_e32 v19, 0
	v_lshl_add_u64 v[20:21], v[18:19], 3, v[16:17]
	v_add_co_u32_e32 v22, vcc, 0x1000, v20
	s_nop 1
	v_addc_co_u32_e32 v23, vcc, 0, v21, vcc
	v_add_co_u32_e32 v30, vcc, 0x2000, v20
	s_nop 1
	v_addc_co_u32_e32 v31, vcc, 0, v21, vcc
	global_load_dwordx2 v[0:1], v[30:31], off offset:3688
	global_load_dwordx2 v[2:3], v[22:23], off offset:2384
	global_load_dwordx2 v[12:13], v[22:23], off offset:3464
	v_add_co_u32_e32 v32, vcc, 0x3000, v20
	s_nop 1
	v_addc_co_u32_e32 v33, vcc, 0, v21, vcc
	global_load_dwordx2 v[44:45], v[20:21], off
	global_load_dwordx2 v[42:43], v[20:21], off offset:1080
	global_load_dwordx2 v[36:37], v[20:21], off offset:2160
	;; [unrolled: 1-line block ×11, first 2 shown]
	s_waitcnt vmcnt(11)
	v_mov_b32_e32 v38, v45
	s_waitcnt vmcnt(10)
	v_mov_b32_e32 v30, v43
	;; [unrolled: 2-line block ×5, first 2 shown]
.LBB0_11:
	s_or_b64 exec, exec, s[2:3]
	s_waitcnt vmcnt(4)
	v_pk_add_f32 v[52:53], v[24:25], v[26:27]
	v_pk_add_f32 v[40:41], v[26:27], v[24:25] neg_lo:[0,1] neg_hi:[0,1]
	v_mul_f32_e32 v47, 0.5, v52
	v_mov_b32_e32 v46, v26
	v_mul_f32_e32 v49, 0x3f5db3d7, v41
	v_pk_add_f32 v[46:47], v[44:45], v[46:47] op_sel_hi:[0,1] neg_lo:[0,1] neg_hi:[0,1]
	v_pk_add_f32 v[44:45], v[44:45], v[26:27]
	v_mov_b32_e32 v48, v24
	v_pk_add_f32 v[50:51], v[0:1], v[2:3]
	v_mad_u32_u24 v21, v18, 12, 0
	v_pk_add_f32 v[44:45], v[44:45], v[24:25]
	v_pk_add_f32 v[48:49], v[46:47], v[48:49] neg_lo:[0,1] neg_hi:[0,1]
	ds_write2_b32 v21, v44, v49 offset1:1
	v_mul_f32_e32 v45, 0.5, v50
	v_pk_add_f32 v[54:55], v[2:3], v[0:1] neg_lo:[0,1] neg_hi:[0,1]
	v_mov_b32_e32 v44, v2
	v_pk_add_f32 v[44:45], v[42:43], v[44:45] op_sel_hi:[0,1] neg_lo:[0,1] neg_hi:[0,1]
	v_pk_add_f32 v[42:43], v[42:43], v[2:3]
	v_mul_f32_e32 v49, 0x3f5db3d7, v55
	v_mov_b32_e32 v48, v0
	v_pk_add_f32 v[42:43], v[42:43], v[0:1]
	v_pk_add_f32 v[48:49], v[44:45], v[48:49] neg_lo:[0,1] neg_hi:[0,1]
	v_add_u32_e32 v23, 0x654, v21
	s_waitcnt vmcnt(2)
	v_pk_add_f32 v[56:57], v[14:15], v[12:13]
	ds_write2_b32 v23, v42, v49 offset1:1
	v_fmac_f32_e32 v45, 0x3f5db3d7, v55
	v_mul_f32_e32 v43, 0.5, v56
	v_mov_b32_e32 v42, v12
	v_pk_add_f32 v[58:59], v[12:13], v[14:15] neg_lo:[0,1] neg_hi:[0,1]
	v_fmac_f32_e32 v47, 0x3f5db3d7, v41
	ds_write_b32 v21, v45 offset:1628
	v_pk_add_f32 v[42:43], v[36:37], v[42:43] op_sel_hi:[0,1] neg_lo:[0,1] neg_hi:[0,1]
	v_pk_add_f32 v[36:37], v[36:37], v[12:13]
	v_mul_f32_e32 v45, 0x3f5db3d7, v59
	v_mov_b32_e32 v44, v14
	v_add_u32_e32 v41, 0x10e, v18
	v_pk_add_f32 v[36:37], v[36:37], v[14:15]
	v_pk_add_f32 v[44:45], v[42:43], v[44:45] neg_lo:[0,1] neg_hi:[0,1]
	v_mad_u32_u24 v42, v41, 12, 0
	s_waitcnt vmcnt(1)
	v_pk_add_f32 v[60:61], v[8:9], v[10:11]
	ds_write_b32 v21, v47 offset:8
	ds_write2_b32 v42, v36, v45 offset1:1
	v_mul_f32_e32 v37, 0.5, v60
	v_mov_b32_e32 v36, v10
	v_pk_add_f32 v[62:63], v[10:11], v[8:9] neg_lo:[0,1] neg_hi:[0,1]
	v_fmac_f32_e32 v43, 0x3f5db3d7, v59
	v_pk_add_f32 v[36:37], v[34:35], v[36:37] op_sel_hi:[0,1] neg_lo:[0,1] neg_hi:[0,1]
	v_pk_add_f32 v[34:35], v[34:35], v[10:11]
	v_mul_f32_e32 v45, 0x3f5db3d7, v63
	v_mov_b32_e32 v44, v8
	v_add_u32_e32 v39, 0x195, v18
	ds_write_b32 v42, v43 offset:8
	v_pk_add_f32 v[34:35], v[34:35], v[8:9]
	v_pk_add_f32 v[44:45], v[36:37], v[44:45] neg_lo:[0,1] neg_hi:[0,1]
	v_mad_u32_u24 v43, v39, 12, 0
	s_waitcnt vmcnt(0)
	v_pk_add_f32 v[64:65], v[4:5], v[6:7]
	ds_write2_b32 v43, v34, v45 offset1:1
	v_fmac_f32_e32 v37, 0x3f5db3d7, v63
	v_mul_f32_e32 v35, 0.5, v64
	v_mov_b32_e32 v34, v6
	v_pk_add_f32 v[66:67], v[6:7], v[4:5] neg_lo:[0,1] neg_hi:[0,1]
	ds_write_b32 v43, v37 offset:8
	v_pk_add_f32 v[34:35], v[28:29], v[34:35] op_sel_hi:[0,1] neg_lo:[0,1] neg_hi:[0,1]
	v_pk_add_f32 v[28:29], v[28:29], v[6:7]
	v_mul_f32_e32 v37, 0x3f5db3d7, v67
	v_mov_b32_e32 v36, v4
	v_pk_add_f32 v[28:29], v[28:29], v[4:5]
	v_pk_add_f32 v[36:37], v[34:35], v[36:37] neg_lo:[0,1] neg_hi:[0,1]
	v_add_u32_e32 v33, 0x1950, v21
	ds_write2_b32 v33, v28, v37 offset1:1
	v_mul_f32_e32 v29, 0.5, v51
	v_mov_b32_e32 v28, v3
	v_mov_b32_e32 v0, v3
	v_pk_add_f32 v[2:3], v[30:31], v[0:1] op_sel_hi:[0,1]
	v_pk_add_f32 v[68:69], v[30:31], v[28:29] op_sel_hi:[0,1] neg_lo:[0,1] neg_hi:[0,1]
	v_mov_b32_e32 v0, v1
	v_mul_f32_e32 v1, 0x3f5db3d7, v54
	v_mov_b32_e32 v3, v69
	v_pk_add_f32 v[70:71], v[0:1], v[2:3]
	v_lshlrev_b32_e32 v0, 3, v18
	v_lshlrev_b32_e32 v49, 3, v39
	v_fmac_f32_e32 v35, 0x3f5db3d7, v67
	v_sub_u32_e32 v44, v21, v0
	v_lshlrev_b32_e32 v48, 3, v41
	v_sub_u32_e32 v52, v43, v49
	ds_write_b32 v21, v35 offset:6488
	s_waitcnt lgkmcnt(0)
	s_barrier
	v_add_u32_e32 v46, 0x800, v44
	v_add_u32_e32 v19, 0x1400, v44
	;; [unrolled: 1-line block ×3, first 2 shown]
	v_sub_u32_e32 v51, v42, v48
	v_add_u32_e32 v47, 0x1800, v44
	v_add_u32_e32 v50, 0x1000, v44
	ds_read_b32 v4, v52
	ds_read_b32 v6, v51
	ds_read_b32 v55, v44 offset:7560
	ds_read2_b32 v[2:3], v44 offset1:135
	ds_read2_b32 v[0:1], v46 offset0:28 offset1:163
	ds_read2_b32 v[28:29], v19 offset0:70 offset1:205
	;; [unrolled: 1-line block ×5, first 2 shown]
	s_waitcnt lgkmcnt(0)
	s_barrier
	ds_write2_b32 v23, v70, v71 offset1:1
	v_mul_f32_e32 v71, 0.5, v53
	v_mov_b32_e32 v70, v27
	v_mov_b32_e32 v8, v27
	v_pk_add_f32 v[26:27], v[38:39], v[8:9] op_sel_hi:[0,1]
	v_pk_add_f32 v[70:71], v[38:39], v[70:71] op_sel_hi:[0,1] neg_lo:[0,1] neg_hi:[0,1]
	v_mov_b32_e32 v24, v25
	v_mul_f32_e32 v25, 0x3f5db3d7, v40
	v_mov_b32_e32 v27, v71
	v_pk_add_f32 v[24:25], v[24:25], v[26:27]
	v_fmac_f32_e32 v71, 0xbf5db3d7, v40
	ds_write2_b32 v21, v24, v25 offset1:1
	ds_write_b32 v21, v71 offset:8
	v_mul_f32_e32 v25, 0.5, v57
	v_mov_b32_e32 v24, v13
	v_mov_b32_e32 v8, v13
	v_pk_add_f32 v[12:13], v[32:33], v[8:9] op_sel_hi:[0,1]
	v_pk_add_f32 v[24:25], v[32:33], v[24:25] op_sel_hi:[0,1] neg_lo:[0,1] neg_hi:[0,1]
	v_mov_b32_e32 v14, v15
	v_mul_f32_e32 v15, 0x3f5db3d7, v58
	v_mov_b32_e32 v13, v25
	v_fmac_f32_e32 v69, 0xbf5db3d7, v54
	v_pk_add_f32 v[12:13], v[14:15], v[12:13]
	ds_write_b32 v21, v69 offset:1628
	v_fmac_f32_e32 v25, 0xbf5db3d7, v58
	ds_write2_b32 v42, v12, v13 offset1:1
	ds_write_b32 v42, v25 offset:8
	v_mul_f32_e32 v13, 0.5, v61
	v_mov_b32_e32 v12, v11
	v_mov_b32_e32 v8, v11
	v_pk_add_f32 v[10:11], v[22:23], v[8:9] op_sel_hi:[0,1]
	v_pk_add_f32 v[12:13], v[22:23], v[12:13] op_sel_hi:[0,1] neg_lo:[0,1] neg_hi:[0,1]
	v_mul_f32_e32 v15, 0x3f5db3d7, v62
	v_mov_b32_e32 v14, v9
	v_mov_b32_e32 v11, v13
	v_mul_f32_e32 v9, 0x3f5db3d7, v66
	v_pk_add_f32 v[10:11], v[14:15], v[10:11]
	v_add_u32_e32 v38, 0x21c, v18
	v_mov_b32_e32 v8, v7
	s_mov_b32 s2, 0xaaab
	v_mul_f32_e32 v23, 0.5, v65
	v_fmac_f32_e32 v13, 0xbf5db3d7, v62
	ds_write2_b32 v43, v10, v11 offset1:1
	ds_write_b32 v43, v13 offset:8
	v_mov_b32_e32 v22, v7
	v_pk_add_f32 v[10:11], v[20:21], v[8:9] op_sel_hi:[0,1]
	v_mov_b32_e32 v8, v5
	v_mul_u32_u24_sdwa v5, v38, s2 dst_sel:DWORD dst_unused:UNUSED_PAD src0_sel:WORD_0 src1_sel:DWORD
	v_pk_add_f32 v[12:13], v[20:21], v[22:23] op_sel_hi:[0,1] neg_lo:[0,1] neg_hi:[0,1]
	v_lshrrev_b32_e32 v5, 17, v5
	v_mov_b32_e32 v11, v13
	v_mul_lo_u16_e32 v7, 3, v5
	v_pk_add_f32 v[8:9], v[8:9], v[10:11]
	v_sub_u16_e32 v7, v38, v7
	v_fmac_f32_e32 v13, 0xbf5db3d7, v66
	ds_write2_b32 v33, v8, v9 offset1:1
	ds_write_b32 v21, v13 offset:6488
	v_lshlrev_b32_e32 v8, 4, v7
	s_waitcnt lgkmcnt(0)
	s_barrier
	global_load_dwordx4 v[8:11], v8, s[4:5]
	v_mul_u32_u24_sdwa v12, v39, s2 dst_sel:DWORD dst_unused:UNUSED_PAD src0_sel:WORD_0 src1_sel:DWORD
	v_lshrrev_b32_e32 v40, 17, v12
	v_mul_lo_u16_e32 v12, 3, v40
	v_sub_u16_e32 v53, v39, v12
	v_lshlrev_b32_e32 v12, 4, v53
	global_load_dwordx4 v[12:15], v12, s[4:5]
	ds_read2_b32 v[32:33], v50 offset0:56 offset1:191
	ds_read_b32 v24, v44 offset:7560
	v_mul_u32_u24_sdwa v20, v41, s2 dst_sel:DWORD dst_unused:UNUSED_PAD src0_sel:WORD_0 src1_sel:DWORD
	v_lshrrev_b32_e32 v56, 17, v20
	v_mul_lo_u16_e32 v20, 3, v56
	v_sub_u16_e32 v57, v41, v20
	v_lshlrev_b32_e32 v20, 4, v57
	global_load_dwordx4 v[20:23], v20, s[4:5]
	ds_read_b32 v59, v51
	s_mov_b32 s3, 0xe38f
	s_waitcnt vmcnt(2) lgkmcnt(2)
	v_mul_f32_e32 v58, v33, v9
	v_fmac_f32_e32 v58, v37, v8
	s_waitcnt lgkmcnt(1)
	v_mul_f32_e32 v60, v24, v11
	v_mul_f32_e32 v11, v55, v11
	;; [unrolled: 1-line block ×3, first 2 shown]
	v_add_u32_e32 v37, 0x87, v18
	v_fmac_f32_e32 v60, v55, v10
	v_fma_f32 v61, v24, v10, -v11
	v_mul_u32_u24_sdwa v10, v37, s2 dst_sel:DWORD dst_unused:UNUSED_PAD src0_sel:WORD_0 src1_sel:DWORD
	v_lshrrev_b32_e32 v62, 17, v10
	v_mul_lo_u16_e32 v10, 3, v62
	v_sub_u16_e32 v63, v37, v10
	v_lshlrev_b32_e32 v10, 4, v63
	global_load_dwordx4 v[24:27], v10, s[4:5]
	s_movk_i32 s2, 0xab
	v_fma_f32 v33, v33, v8, -v9
	v_mul_lo_u16_sdwa v8, v18, s2 dst_sel:DWORD dst_unused:UNUSED_PAD src0_sel:BYTE_0 src1_sel:DWORD
	v_lshrrev_b16_e32 v64, 9, v8
	v_mul_lo_u16_e32 v8, 3, v64
	v_sub_u16_e32 v65, v18, v8
	v_mov_b32_e32 v8, 4
	v_lshlrev_b32_sdwa v8, v8, v65 dst_sel:DWORD dst_unused:UNUSED_PAD src0_sel:DWORD src1_sel:BYTE_0
	global_load_dwordx4 v[8:11], v8, s[4:5]
	ds_read2_b32 v[54:55], v47 offset0:84 offset1:219
	s_waitcnt vmcnt(3)
	v_mul_f32_e32 v66, v32, v13
	v_mul_f32_e32 v13, v36, v13
	v_fmac_f32_e32 v66, v36, v12
	ds_read_b32 v36, v52
	v_fma_f32 v32, v32, v12, -v13
	v_mul_f32_e32 v12, v35, v15
	s_waitcnt lgkmcnt(1)
	v_fma_f32 v68, v55, v14, -v12
	ds_read2_b32 v[12:13], v45 offset0:42 offset1:177
	v_mul_f32_e32 v67, v55, v15
	v_fmac_f32_e32 v67, v35, v14
	s_waitcnt vmcnt(2)
	v_mul_f32_e32 v14, v34, v23
	v_mul_f32_e32 v69, v54, v23
	v_fma_f32 v54, v54, v22, -v14
	v_mul_f32_e32 v14, v31, v21
	s_waitcnt lgkmcnt(0)
	v_fma_f32 v71, v13, v20, -v14
	ds_read2_b32 v[14:15], v19 offset0:70 offset1:205
	v_mul_f32_e32 v70, v13, v21
	v_fmac_f32_e32 v70, v31, v20
	v_fmac_f32_e32 v69, v34, v22
	v_mov_b32_e32 v34, 2
	s_mov_b32 s2, 0x5040100
	s_waitcnt vmcnt(1)
	v_mul_f32_e32 v13, v30, v25
	v_mul_f32_e32 v72, v12, v25
	v_fma_f32 v73, v12, v24, -v13
	v_mul_f32_e32 v12, v29, v27
	s_waitcnt lgkmcnt(0)
	v_mul_f32_e32 v74, v15, v27
	v_fma_f32 v15, v15, v26, -v12
	ds_read2_b32 v[12:13], v46 offset0:28 offset1:163
	v_fmac_f32_e32 v72, v30, v24
	v_fmac_f32_e32 v74, v29, v26
	s_waitcnt vmcnt(0)
	v_mul_f32_e32 v20, v14, v11
	v_mul_f32_e32 v11, v28, v11
	v_fmac_f32_e32 v20, v28, v10
	v_fma_f32 v10, v14, v10, -v11
	s_waitcnt lgkmcnt(0)
	v_mul_f32_e32 v11, v13, v9
	v_fmac_f32_e32 v11, v1, v8
	v_mul_f32_e32 v1, v1, v9
	v_fma_f32 v1, v13, v8, -v1
	v_mul_u32_u24_e32 v8, 36, v64
	v_lshlrev_b32_sdwa v9, v34, v65 dst_sel:DWORD dst_unused:UNUSED_PAD src0_sel:DWORD src1_sel:BYTE_0
	v_add3_u32 v13, 0, v8, v9
	v_add_f32_e32 v8, v2, v11
	v_add_f32_e32 v14, v8, v20
	;; [unrolled: 1-line block ×3, first 2 shown]
	v_fma_f32 v2, -0.5, v8, v2
	v_sub_f32_e32 v21, v1, v10
	v_fmamk_f32 v22, v21, 0xbf5db3d7, v2
	ds_read2_b32 v[8:9], v44 offset1:135
	s_waitcnt lgkmcnt(0)
	s_barrier
	ds_write2_b32 v13, v14, v22 offset1:3
	v_fmac_f32_e32 v2, 0x3f5db3d7, v21
	v_add_f32_e32 v14, v3, v72
	v_add_f32_e32 v21, v72, v74
	v_fmac_f32_e32 v3, -0.5, v21
	v_mul_u32_u24_e32 v21, 36, v62
	v_lshlrev_b32_e32 v22, 2, v63
	ds_write_b32 v13, v2 offset:24
	v_add_f32_e32 v2, v14, v74
	v_sub_f32_e32 v14, v73, v15
	v_add3_u32 v62, 0, v21, v22
	v_fmamk_f32 v21, v14, 0xbf5db3d7, v3
	v_fmac_f32_e32 v3, 0x3f5db3d7, v14
	ds_write_b32 v62, v3 offset:24
	v_add_f32_e32 v3, v70, v69
	ds_write2_b32 v62, v2, v21 offset1:3
	v_add_f32_e32 v2, v6, v70
	v_fmac_f32_e32 v6, -0.5, v3
	v_perm_b32 v3, v40, v56, s2
	v_pk_mul_lo_u16 v3, v3, 36 op_sel_hi:[1,0]
	v_lshlrev_b32_e32 v14, 2, v57
	v_and_b32_e32 v21, 0xfffc, v3
	v_add3_u32 v14, 0, v21, v14
	v_sub_f32_e32 v21, v71, v54
	v_fmamk_f32 v22, v21, 0xbf5db3d7, v6
	v_fmac_f32_e32 v6, 0x3f5db3d7, v21
	v_add_f32_e32 v2, v2, v69
	v_add_f32_e32 v21, v66, v67
	ds_write_b32 v14, v6 offset:24
	v_lshrrev_b32_e32 v3, 16, v3
	v_lshlrev_b32_e32 v6, 2, v53
	ds_write2_b32 v14, v2, v22 offset1:3
	v_add_f32_e32 v2, v4, v66
	v_fmac_f32_e32 v4, -0.5, v21
	v_add3_u32 v3, 0, v3, v6
	v_sub_f32_e32 v6, v32, v68
	v_add_f32_e32 v2, v2, v67
	v_fmamk_f32 v21, v6, 0xbf5db3d7, v4
	ds_write2_b32 v3, v2, v21 offset1:3
	v_add_f32_e32 v2, v8, v1
	v_add_f32_e32 v2, v2, v10
	;; [unrolled: 1-line block ×3, first 2 shown]
	v_sub_f32_e32 v10, v11, v20
	v_add_f32_e32 v20, v58, v60
	v_fmac_f32_e32 v4, 0x3f5db3d7, v6
	v_add_f32_e32 v11, v0, v58
	v_fmac_f32_e32 v0, -0.5, v20
	v_sub_f32_e32 v20, v33, v61
	ds_write_b32 v3, v4 offset:24
	v_mul_u32_u24_e32 v4, 36, v5
	v_lshlrev_b32_e32 v5, 2, v7
	v_fmamk_f32 v21, v20, 0xbf5db3d7, v0
	v_fmac_f32_e32 v0, 0x3f5db3d7, v20
	v_add3_u32 v4, 0, v4, v5
	v_fma_f32 v1, -0.5, v1, v8
	v_add_f32_e32 v5, v11, v60
	ds_write2_b32 v4, v5, v21 offset1:3
	ds_write_b32 v4, v0 offset:24
	v_fmamk_f32 v0, v10, 0x3f5db3d7, v1
	v_fmac_f32_e32 v1, 0xbf5db3d7, v10
	s_waitcnt lgkmcnt(0)
	s_barrier
	ds_read2_b32 v[20:21], v44 offset1:135
	ds_read_b32 v55, v52
	ds_read_b32 v35, v51
	ds_read_b32 v40, v44 offset:7560
	ds_read2_b32 v[30:31], v45 offset0:42 offset1:177
	ds_read2_b32 v[26:27], v50 offset0:56 offset1:191
	;; [unrolled: 1-line block ×5, first 2 shown]
	s_waitcnt lgkmcnt(0)
	s_barrier
	ds_write_b32 v13, v1 offset:24
	v_add_f32_e32 v1, v73, v15
	ds_write2_b32 v13, v2, v0 offset1:3
	v_add_f32_e32 v0, v9, v73
	v_fmac_f32_e32 v9, -0.5, v1
	v_sub_f32_e32 v1, v72, v74
	v_add_f32_e32 v5, v33, v61
	v_fmamk_f32 v2, v1, 0x3f5db3d7, v9
	v_fmac_f32_e32 v9, 0xbf5db3d7, v1
	v_add_f32_e32 v1, v12, v33
	v_fmac_f32_e32 v12, -0.5, v5
	v_sub_f32_e32 v5, v58, v60
	v_add_f32_e32 v7, v71, v54
	v_fmamk_f32 v6, v5, 0x3f5db3d7, v12
	v_fmac_f32_e32 v12, 0xbf5db3d7, v5
	v_add_f32_e32 v5, v59, v71
	v_fmac_f32_e32 v59, -0.5, v7
	v_sub_f32_e32 v7, v70, v69
	v_add_f32_e32 v10, v32, v68
	v_add_f32_e32 v0, v0, v15
	v_fmamk_f32 v8, v7, 0x3f5db3d7, v59
	v_fmac_f32_e32 v59, 0xbf5db3d7, v7
	v_add_f32_e32 v7, v36, v32
	v_fmac_f32_e32 v36, -0.5, v10
	v_sub_f32_e32 v10, v66, v67
	v_add_f32_e32 v1, v1, v61
	v_add_f32_e32 v5, v5, v54
	;; [unrolled: 1-line block ×3, first 2 shown]
	v_fmamk_f32 v11, v10, 0x3f5db3d7, v36
	v_fmac_f32_e32 v36, 0xbf5db3d7, v10
	ds_write2_b32 v62, v0, v2 offset1:3
	ds_write_b32 v62, v9 offset:24
	ds_write2_b32 v14, v5, v8 offset1:3
	ds_write_b32 v14, v59 offset:24
	ds_write2_b32 v3, v7, v11 offset1:3
	ds_write_b32 v3, v36 offset:24
	ds_write2_b32 v4, v1, v6 offset1:3
	ds_write_b32 v4, v12 offset:24
	v_mov_b32_e32 v0, 57
	v_mul_lo_u16_sdwa v0, v18, v0 dst_sel:DWORD dst_unused:UNUSED_PAD src0_sel:BYTE_0 src1_sel:DWORD
	v_lshrrev_b16_e32 v56, 9, v0
	v_mul_lo_u16_e32 v0, 9, v56
	v_sub_u16_e32 v57, v18, v0
	v_mov_b32_e32 v36, 5
	v_lshlrev_b32_sdwa v12, v36, v57 dst_sel:DWORD dst_unused:UNUSED_PAD src0_sel:DWORD src1_sel:BYTE_0
	s_waitcnt lgkmcnt(0)
	s_barrier
	global_load_dwordx4 v[0:3], v12, s[4:5] offset:48
	v_mul_u32_u24_sdwa v4, v37, s3 dst_sel:DWORD dst_unused:UNUSED_PAD src0_sel:WORD_0 src1_sel:DWORD
	v_lshrrev_b32_e32 v53, 19, v4
	v_mul_lo_u16_e32 v4, 9, v53
	v_sub_u16_e32 v54, v37, v4
	v_lshlrev_b32_e32 v60, 5, v54
	global_load_dwordx4 v[4:7], v60, s[4:5] offset:48
	v_mul_u32_u24_sdwa v8, v41, s3 dst_sel:DWORD dst_unused:UNUSED_PAD src0_sel:WORD_0 src1_sel:DWORD
	v_lshrrev_b32_e32 v61, 19, v8
	v_mul_lo_u16_e32 v8, 9, v61
	v_sub_u16_e32 v62, v41, v8
	v_lshlrev_b32_e32 v63, 5, v62
	global_load_dwordx4 v[8:11], v63, s[4:5] offset:48
	ds_read_b32 v58, v52
	ds_read2_b32 v[32:33], v45 offset0:42 offset1:177
	global_load_dwordx4 v[12:15], v12, s[4:5] offset:64
	ds_read_b32 v64, v51
	s_movk_i32 s3, 0x1000
	s_waitcnt vmcnt(3) lgkmcnt(2)
	v_mul_f32_e32 v65, v58, v1
	v_mul_f32_e32 v1, v55, v1
	v_fmac_f32_e32 v65, v55, v0
	v_fma_f32 v55, v58, v0, -v1
	ds_read2_b32 v[58:59], v46 offset0:28 offset1:163
	s_waitcnt lgkmcnt(2)
	v_mul_f32_e32 v66, v32, v3
	v_mul_f32_e32 v0, v30, v3
	v_fmac_f32_e32 v66, v30, v2
	v_fma_f32 v32, v32, v2, -v0
	global_load_dwordx4 v[0:3], v60, s[4:5] offset:64
	s_waitcnt vmcnt(3)
	v_mul_f32_e32 v60, v33, v7
	v_mul_f32_e32 v7, v31, v7
	s_waitcnt lgkmcnt(0)
	v_mul_f32_e32 v67, v58, v5
	v_mul_f32_e32 v5, v28, v5
	v_fmac_f32_e32 v60, v31, v6
	v_fma_f32 v33, v33, v6, -v7
	v_fmac_f32_e32 v67, v28, v4
	ds_read_b32 v28, v44 offset:7560
	v_fma_f32 v58, v58, v4, -v5
	global_load_dwordx4 v[4:7], v63, s[4:5] offset:64
	ds_read2_b32 v[30:31], v50 offset0:56 offset1:191
	s_waitcnt vmcnt(3)
	v_mul_f32_e32 v63, v59, v9
	v_mul_f32_e32 v9, v29, v9
	v_fmac_f32_e32 v63, v29, v8
	v_fma_f32 v59, v59, v8, -v9
	v_mul_f32_e32 v8, v26, v11
	s_waitcnt lgkmcnt(0)
	v_fma_f32 v69, v30, v10, -v8
	ds_read2_b32 v[8:9], v47 offset0:84 offset1:219
	v_mul_f32_e32 v68, v30, v11
	v_fmac_f32_e32 v68, v26, v10
	s_waitcnt vmcnt(2)
	v_mul_f32_e32 v26, v31, v13
	v_mul_f32_e32 v10, v27, v13
	v_fmac_f32_e32 v26, v27, v12
	v_fma_f32 v12, v31, v12, -v10
	v_mul_f32_e32 v10, v24, v15
	s_waitcnt lgkmcnt(0)
	v_mul_f32_e32 v13, v8, v15
	v_fma_f32 v8, v8, v14, -v10
	ds_read2_b32 v[10:11], v19 offset0:70 offset1:205
	v_fmac_f32_e32 v13, v24, v14
	v_sub_f32_e32 v24, v32, v12
	s_waitcnt vmcnt(1)
	v_mul_f32_e32 v14, v9, v3
	v_mul_f32_e32 v3, v25, v3
	v_fmac_f32_e32 v14, v25, v2
	v_fma_f32 v2, v9, v2, -v3
	s_waitcnt lgkmcnt(0)
	v_mul_f32_e32 v3, v10, v1
	v_mul_f32_e32 v1, v22, v1
	v_fmac_f32_e32 v3, v22, v0
	v_fma_f32 v9, v10, v0, -v1
	v_sub_f32_e32 v1, v13, v26
	v_sub_f32_e32 v22, v55, v8
	s_waitcnt vmcnt(0)
	v_mul_f32_e32 v10, v11, v5
	v_mul_f32_e32 v0, v23, v5
	v_fmac_f32_e32 v10, v23, v4
	v_fma_f32 v4, v11, v4, -v0
	v_mul_f32_e32 v5, v28, v7
	v_mul_f32_e32 v0, v40, v7
	v_fmac_f32_e32 v5, v40, v6
	v_fma_f32 v6, v28, v6, -v0
	v_sub_f32_e32 v0, v65, v66
	v_add_f32_e32 v7, v0, v1
	v_lshlrev_b32_sdwa v0, v34, v57 dst_sel:DWORD dst_unused:UNUSED_PAD src0_sel:DWORD src1_sel:BYTE_0
	v_mul_u32_u24_e32 v1, 0xb4, v56
	v_add3_u32 v11, 0, v1, v0
	v_add_f32_e32 v0, v66, v26
	v_fma_f32 v15, -0.5, v0, v20
	v_add_f32_e32 v0, v20, v65
	v_fmamk_f32 v23, v22, 0xbf737871, v15
	v_add_f32_e32 v0, v0, v66
	v_fmac_f32_e32 v23, 0xbf167918, v24
	v_add_f32_e32 v0, v0, v26
	v_fmac_f32_e32 v23, 0x3e9e377a, v7
	v_add_f32_e32 v25, v0, v13
	ds_read2_b32 v[0:1], v44 offset1:135
	s_waitcnt lgkmcnt(0)
	s_barrier
	ds_write2_b32 v11, v25, v23 offset1:9
	v_sub_f32_e32 v23, v66, v65
	v_sub_f32_e32 v25, v26, v13
	v_add_f32_e32 v23, v23, v25
	v_add_f32_e32 v25, v65, v13
	v_fma_f32 v20, -0.5, v25, v20
	v_fmamk_f32 v25, v24, 0x3f737871, v20
	v_fmac_f32_e32 v20, 0xbf737871, v24
	v_fmac_f32_e32 v15, 0x3f737871, v22
	;; [unrolled: 1-line block ×8, first 2 shown]
	v_add_f32_e32 v7, v60, v3
	v_add_f32_e32 v22, v67, v14
	ds_write2_b32 v11, v25, v20 offset0:18 offset1:27
	v_fma_f32 v7, -0.5, v7, v21
	v_add_f32_e32 v20, v21, v67
	v_fmac_f32_e32 v21, -0.5, v22
	v_sub_f32_e32 v22, v60, v67
	v_sub_f32_e32 v23, v3, v14
	v_add_f32_e32 v22, v22, v23
	v_sub_f32_e32 v23, v33, v9
	v_fmamk_f32 v24, v23, 0x3f737871, v21
	v_fmac_f32_e32 v21, 0xbf737871, v23
	v_sub_f32_e32 v25, v58, v2
	ds_write_b32 v11, v15 offset:144
	v_perm_b32 v15, v61, v53, s2
	s_movk_i32 s2, 0xb4
	v_fmac_f32_e32 v24, 0xbf167918, v25
	v_fmac_f32_e32 v21, 0x3f167918, v25
	v_pk_mul_lo_u16 v15, v15, s2 op_sel_hi:[1,0]
	v_fmac_f32_e32 v24, 0x3e9e377a, v22
	v_fmac_f32_e32 v21, 0x3e9e377a, v22
	v_lshlrev_b32_e32 v22, 2, v54
	v_and_b32_e32 v27, 0xfffc, v15
	v_add3_u32 v40, 0, v27, v22
	ds_write2_b32 v40, v24, v21 offset0:18 offset1:27
	v_sub_f32_e32 v21, v67, v60
	v_sub_f32_e32 v22, v14, v3
	v_add_f32_e32 v21, v21, v22
	v_fmamk_f32 v22, v25, 0xbf737871, v7
	v_fmac_f32_e32 v7, 0x3f737871, v25
	v_add_f32_e32 v20, v20, v60
	v_fmac_f32_e32 v7, 0x3f167918, v23
	v_fmac_f32_e32 v22, 0xbf167918, v23
	v_add_f32_e32 v20, v20, v3
	v_fmac_f32_e32 v7, 0x3e9e377a, v21
	v_fmac_f32_e32 v22, 0x3e9e377a, v21
	v_add_f32_e32 v20, v20, v14
	ds_write_b32 v40, v7 offset:144
	v_lshlrev_b32_e32 v7, 2, v62
	v_lshrrev_b32_e32 v15, 16, v15
	ds_write2_b32 v40, v20, v22 offset1:9
	v_sub_f32_e32 v20, v63, v68
	v_sub_f32_e32 v21, v5, v10
	v_add3_u32 v7, 0, v15, v7
	v_add_f32_e32 v15, v68, v10
	v_add_f32_e32 v20, v20, v21
	v_fma_f32 v15, -0.5, v15, v35
	v_sub_f32_e32 v21, v59, v6
	v_add_f32_e32 v24, v35, v63
	v_fmamk_f32 v22, v21, 0xbf737871, v15
	v_sub_f32_e32 v23, v69, v4
	v_add_f32_e32 v24, v24, v68
	v_fmac_f32_e32 v22, 0xbf167918, v23
	v_add_f32_e32 v24, v24, v10
	v_fmac_f32_e32 v22, 0x3e9e377a, v20
	v_add_f32_e32 v24, v24, v5
	ds_write2_b32 v7, v24, v22 offset1:9
	v_add_f32_e32 v22, v63, v5
	v_fmac_f32_e32 v35, -0.5, v22
	v_sub_f32_e32 v22, v68, v63
	v_sub_f32_e32 v24, v10, v5
	v_fmac_f32_e32 v15, 0x3f737871, v21
	v_add_f32_e32 v22, v22, v24
	v_fmamk_f32 v24, v23, 0x3f737871, v35
	v_fmac_f32_e32 v35, 0xbf737871, v23
	v_fmac_f32_e32 v15, 0x3f167918, v23
	;; [unrolled: 1-line block ×5, first 2 shown]
	v_add_f32_e32 v20, v0, v55
	v_fmac_f32_e32 v24, 0x3e9e377a, v22
	v_fmac_f32_e32 v35, 0x3e9e377a, v22
	v_sub_f32_e32 v22, v55, v32
	v_add_f32_e32 v21, v32, v12
	v_add_f32_e32 v20, v20, v32
	ds_write_b32 v7, v15 offset:144
	v_sub_f32_e32 v15, v32, v55
	v_add_f32_e32 v32, v55, v8
	v_sub_f32_e32 v53, v66, v26
	v_fma_f32 v61, -0.5, v21, v0
	v_add_f32_e32 v20, v20, v12
	v_fma_f32 v0, -0.5, v32, v0
	ds_write2_b32 v7, v24, v35 offset0:18 offset1:27
	v_sub_f32_e32 v13, v65, v13
	v_sub_f32_e32 v24, v8, v12
	v_add_f32_e32 v65, v20, v8
	v_sub_f32_e32 v8, v12, v8
	v_fmamk_f32 v12, v53, 0xbf737871, v0
	v_fmac_f32_e32 v0, 0x3f737871, v53
	v_add_f32_e32 v8, v15, v8
	v_fmac_f32_e32 v12, 0x3f167918, v13
	v_fmac_f32_e32 v0, 0xbf167918, v13
	v_fmamk_f32 v62, v13, 0x3f737871, v61
	v_fmac_f32_e32 v61, 0xbf737871, v13
	v_fmac_f32_e32 v12, 0x3e9e377a, v8
	;; [unrolled: 1-line block ×3, first 2 shown]
	v_sub_f32_e32 v8, v67, v14
	v_sub_f32_e32 v13, v58, v33
	;; [unrolled: 1-line block ×3, first 2 shown]
	v_add_f32_e32 v13, v13, v14
	v_add_f32_e32 v14, v33, v9
	v_fma_f32 v14, -0.5, v14, v1
	v_sub_f32_e32 v3, v60, v3
	v_fmamk_f32 v15, v8, 0x3f737871, v14
	v_fmac_f32_e32 v14, 0xbf737871, v8
	v_fmac_f32_e32 v15, 0x3f167918, v3
	;; [unrolled: 1-line block ×5, first 2 shown]
	v_add_f32_e32 v13, v1, v58
	v_add_f32_e32 v32, v58, v2
	;; [unrolled: 1-line block ×3, first 2 shown]
	v_fmac_f32_e32 v1, -0.5, v32
	v_add_f32_e32 v13, v13, v9
	v_sub_f32_e32 v32, v33, v58
	v_add_f32_e32 v13, v13, v2
	v_sub_f32_e32 v2, v9, v2
	v_fmamk_f32 v9, v3, 0xbf737871, v1
	v_fmac_f32_e32 v1, 0x3f737871, v3
	v_add_f32_e32 v2, v32, v2
	v_fmac_f32_e32 v9, 0x3f167918, v8
	v_fmac_f32_e32 v1, 0xbf167918, v8
	;; [unrolled: 1-line block ×4, first 2 shown]
	v_sub_f32_e32 v2, v63, v5
	v_sub_f32_e32 v5, v59, v69
	;; [unrolled: 1-line block ×3, first 2 shown]
	v_add_f32_e32 v5, v5, v8
	v_add_f32_e32 v8, v69, v4
	v_fma_f32 v8, -0.5, v8, v64
	v_sub_f32_e32 v3, v68, v10
	v_fmamk_f32 v10, v2, 0x3f737871, v8
	v_fmac_f32_e32 v8, 0xbf737871, v2
	v_fmac_f32_e32 v10, 0x3f167918, v3
	;; [unrolled: 1-line block ×5, first 2 shown]
	v_add_f32_e32 v5, v64, v59
	v_add_f32_e32 v32, v59, v6
	;; [unrolled: 1-line block ×3, first 2 shown]
	v_fmac_f32_e32 v64, -0.5, v32
	v_add_f32_e32 v5, v5, v4
	v_add_f32_e32 v57, v22, v24
	v_fmac_f32_e32 v62, 0x3f167918, v53
	v_sub_f32_e32 v32, v69, v59
	v_add_f32_e32 v5, v5, v6
	v_sub_f32_e32 v4, v4, v6
	v_fmamk_f32 v6, v3, 0xbf737871, v64
	v_fmac_f32_e32 v64, 0x3f737871, v3
	v_fmac_f32_e32 v62, 0x3e9e377a, v57
	;; [unrolled: 1-line block ×3, first 2 shown]
	v_add_f32_e32 v4, v32, v4
	v_fmac_f32_e32 v6, 0x3f167918, v2
	v_fmac_f32_e32 v64, 0xbf167918, v2
	s_movk_i32 s2, 0x6d
	s_waitcnt lgkmcnt(0)
	s_barrier
	ds_read_b32 v56, v52
	ds_read_b32 v35, v51
	ds_read_b32 v54, v44 offset:7560
	ds_read2_b32 v[20:21], v44 offset1:135
	ds_read2_b32 v[30:31], v45 offset0:42 offset1:177
	ds_read2_b32 v[26:27], v50 offset0:56 offset1:191
	;; [unrolled: 1-line block ×5, first 2 shown]
	s_waitcnt lgkmcnt(0)
	s_barrier
	ds_write2_b32 v11, v65, v62 offset1:9
	v_fmac_f32_e32 v61, 0x3e9e377a, v57
	v_fmac_f32_e32 v6, 0x3e9e377a, v4
	;; [unrolled: 1-line block ×3, first 2 shown]
	ds_write2_b32 v11, v12, v0 offset0:18 offset1:27
	ds_write_b32 v11, v61 offset:144
	ds_write2_b32 v40, v13, v15 offset1:9
	ds_write2_b32 v40, v9, v1 offset0:18 offset1:27
	ds_write_b32 v40, v14 offset:144
	ds_write2_b32 v7, v5, v10 offset1:9
	ds_write2_b32 v7, v6, v64 offset0:18 offset1:27
	ds_write_b32 v7, v8 offset:144
	v_mul_lo_u16_sdwa v0, v18, s2 dst_sel:DWORD dst_unused:UNUSED_PAD src0_sel:BYTE_0 src1_sel:DWORD
	v_sub_u16_sdwa v1, v18, v0 dst_sel:DWORD dst_unused:UNUSED_PAD src0_sel:DWORD src1_sel:BYTE_1
	v_lshrrev_b16_e32 v1, 1, v1
	v_and_b32_e32 v1, 0x7f, v1
	v_add_u16_sdwa v0, v1, v0 dst_sel:DWORD dst_unused:UNUSED_PAD src0_sel:DWORD src1_sel:BYTE_1
	v_lshrrev_b16_e32 v57, 5, v0
	v_mul_lo_u16_e32 v0, 45, v57
	v_sub_u16_e32 v62, v18, v0
	v_lshlrev_b32_sdwa v32, v36, v62 dst_sel:DWORD dst_unused:UNUSED_PAD src0_sel:DWORD src1_sel:BYTE_0
	s_waitcnt lgkmcnt(0)
	s_barrier
	global_load_dwordx4 v[0:3], v32, s[4:5] offset:336
	s_movk_i32 s2, 0x2d83
	v_mul_u32_u24_sdwa v4, v37, s2 dst_sel:DWORD dst_unused:UNUSED_PAD src0_sel:WORD_0 src1_sel:DWORD
	v_lshrrev_b32_e32 v36, 19, v4
	v_mul_lo_u16_e32 v4, 45, v36
	v_sub_u16_e32 v40, v37, v4
	v_lshlrev_b32_e32 v58, 5, v40
	global_load_dwordx4 v[4:7], v58, s[4:5] offset:336
	v_mul_u32_u24_sdwa v8, v41, s2 dst_sel:DWORD dst_unused:UNUSED_PAD src0_sel:WORD_0 src1_sel:DWORD
	v_lshrrev_b32_e32 v53, 19, v8
	v_mul_lo_u16_e32 v8, 45, v53
	v_sub_u16_e32 v55, v41, v8
	v_lshlrev_b32_e32 v63, 5, v55
	global_load_dwordx4 v[8:11], v63, s[4:5] offset:336
	global_load_dwordx4 v[12:15], v32, s[4:5] offset:352
	ds_read_b32 v64, v52
	ds_read2_b32 v[32:33], v45 offset0:42 offset1:177
	ds_read_b32 v65, v51
	global_load_dwordx4 v[58:61], v58, s[4:5] offset:352
	s_mov_b32 s2, 0x91a3
	s_waitcnt vmcnt(4) lgkmcnt(2)
	v_mul_f32_e32 v66, v64, v1
	v_mul_f32_e32 v1, v56, v1
	v_fmac_f32_e32 v66, v56, v0
	v_fma_f32 v56, v64, v0, -v1
	s_waitcnt lgkmcnt(1)
	v_mul_f32_e32 v64, v32, v3
	v_mul_f32_e32 v0, v30, v3
	v_fmac_f32_e32 v64, v30, v2
	v_fma_f32 v32, v32, v2, -v0
	global_load_dwordx4 v[0:3], v63, s[4:5] offset:352
	s_waitcnt vmcnt(4)
	v_mul_f32_e32 v63, v33, v7
	v_fmac_f32_e32 v63, v31, v6
	v_mul_f32_e32 v7, v31, v7
	ds_read2_b32 v[30:31], v46 offset0:28 offset1:163
	v_fma_f32 v33, v33, v6, -v7
	s_waitcnt vmcnt(3)
	v_mul_f32_e32 v6, v29, v9
	s_waitcnt lgkmcnt(0)
	v_mul_f32_e32 v67, v30, v5
	v_mul_f32_e32 v5, v28, v5
	v_fmac_f32_e32 v67, v28, v4
	v_fma_f32 v28, v30, v4, -v5
	ds_read_b32 v30, v44 offset:7560
	ds_read2_b32 v[4:5], v50 offset0:56 offset1:191
	v_mul_f32_e32 v68, v31, v9
	v_fmac_f32_e32 v68, v29, v8
	v_fma_f32 v8, v31, v8, -v6
	v_mul_f32_e32 v6, v26, v11
	s_waitcnt lgkmcnt(0)
	v_mul_f32_e32 v9, v4, v11
	v_fmac_f32_e32 v9, v26, v10
	v_fma_f32 v10, v4, v10, -v6
	ds_read2_b32 v[6:7], v47 offset0:84 offset1:219
	s_waitcnt vmcnt(2)
	v_mul_f32_e32 v11, v5, v13
	v_mul_f32_e32 v4, v27, v13
	v_fmac_f32_e32 v11, v27, v12
	v_fma_f32 v12, v5, v12, -v4
	v_mul_f32_e32 v4, v24, v15
	s_waitcnt lgkmcnt(0)
	v_mul_f32_e32 v13, v6, v15
	v_fma_f32 v6, v6, v14, -v4
	ds_read2_b32 v[4:5], v19 offset0:70 offset1:205
	s_waitcnt vmcnt(1)
	v_mul_f32_e32 v15, v25, v61
	v_fmac_f32_e32 v13, v24, v14
	v_mul_f32_e32 v14, v7, v61
	v_fma_f32 v7, v7, v60, -v15
	s_waitcnt lgkmcnt(0)
	v_mul_f32_e32 v15, v4, v59
	v_fmac_f32_e32 v15, v22, v58
	v_mul_f32_e32 v22, v22, v59
	v_fma_f32 v4, v4, v58, -v22
	v_fmac_f32_e32 v14, v25, v60
	v_sub_f32_e32 v26, v56, v6
	v_sub_f32_e32 v29, v32, v12
	v_add_f32_e32 v31, v56, v6
	s_waitcnt vmcnt(0)
	v_mul_f32_e32 v22, v5, v1
	v_mul_f32_e32 v1, v23, v1
	v_fmac_f32_e32 v22, v23, v0
	v_fma_f32 v5, v5, v0, -v1
	v_mul_f32_e32 v23, v30, v3
	v_mul_f32_e32 v0, v54, v3
	v_sub_f32_e32 v1, v66, v64
	v_sub_f32_e32 v3, v13, v11
	v_add_f32_e32 v3, v1, v3
	v_add_f32_e32 v1, v64, v11
	v_fmac_f32_e32 v23, v54, v2
	v_fma_f32 v2, v30, v2, -v0
	v_lshlrev_b32_sdwa v0, v34, v62 dst_sel:DWORD dst_unused:UNUSED_PAD src0_sel:DWORD src1_sel:BYTE_0
	v_fma_f32 v24, -0.5, v1, v20
	v_mul_u32_u24_e32 v1, 0x384, v57
	v_add3_u32 v25, 0, v1, v0
	v_add_f32_e32 v0, v20, v66
	v_fmamk_f32 v27, v26, 0xbf737871, v24
	v_add_f32_e32 v0, v0, v64
	v_fmac_f32_e32 v27, 0xbf167918, v29
	v_add_f32_e32 v0, v0, v11
	v_fmac_f32_e32 v24, 0x3f737871, v26
	v_fmac_f32_e32 v27, 0x3e9e377a, v3
	v_add_f32_e32 v30, v0, v13
	v_fmac_f32_e32 v24, 0x3f167918, v29
	ds_read2_b32 v[0:1], v44 offset1:135
	s_waitcnt lgkmcnt(0)
	s_barrier
	ds_write2_b32 v25, v30, v27 offset1:45
	v_fmac_f32_e32 v24, 0x3e9e377a, v3
	v_sub_f32_e32 v3, v64, v66
	v_sub_f32_e32 v27, v11, v13
	v_add_f32_e32 v3, v3, v27
	v_add_f32_e32 v27, v66, v13
	v_fma_f32 v20, -0.5, v27, v20
	v_fmamk_f32 v27, v29, 0x3f737871, v20
	v_fmac_f32_e32 v20, 0xbf737871, v29
	v_fmac_f32_e32 v27, 0xbf167918, v26
	;; [unrolled: 1-line block ×5, first 2 shown]
	v_sub_f32_e32 v3, v66, v13
	v_sub_f32_e32 v13, v56, v32
	;; [unrolled: 1-line block ×3, first 2 shown]
	v_add_f32_e32 v13, v13, v26
	v_add_f32_e32 v26, v32, v12
	v_fma_f32 v26, -0.5, v26, v0
	v_sub_f32_e32 v11, v64, v11
	v_fmamk_f32 v29, v3, 0x3f737871, v26
	v_fmac_f32_e32 v26, 0xbf737871, v3
	v_fmac_f32_e32 v29, 0x3f167918, v11
	;; [unrolled: 1-line block ×5, first 2 shown]
	v_add_f32_e32 v13, v0, v56
	v_add_f32_e32 v13, v13, v32
	;; [unrolled: 1-line block ×3, first 2 shown]
	v_fma_f32 v0, -0.5, v31, v0
	v_add_f32_e32 v13, v13, v6
	v_sub_f32_e32 v30, v32, v56
	v_sub_f32_e32 v6, v12, v6
	v_fmamk_f32 v12, v11, 0xbf737871, v0
	v_fmac_f32_e32 v0, 0x3f737871, v11
	v_add_f32_e32 v6, v30, v6
	v_fmac_f32_e32 v12, 0x3f167918, v3
	v_fmac_f32_e32 v0, 0xbf167918, v3
	v_fmac_f32_e32 v12, 0x3e9e377a, v6
	v_fmac_f32_e32 v0, 0x3e9e377a, v6
	v_sub_f32_e32 v3, v67, v63
	v_sub_f32_e32 v6, v14, v15
	v_add_f32_e32 v3, v3, v6
	v_add_f32_e32 v6, v63, v15
	v_fma_f32 v6, -0.5, v6, v21
	v_sub_f32_e32 v11, v28, v7
	v_fmamk_f32 v30, v11, 0xbf737871, v6
	v_sub_f32_e32 v31, v33, v4
	v_fmac_f32_e32 v6, 0x3f737871, v11
	v_fmac_f32_e32 v30, 0xbf167918, v31
	;; [unrolled: 1-line block ×5, first 2 shown]
	v_add_f32_e32 v3, v21, v67
	v_add_f32_e32 v32, v67, v14
	v_fmac_f32_e32 v21, -0.5, v32
	v_sub_f32_e32 v32, v63, v67
	v_sub_f32_e32 v34, v15, v14
	v_add_f32_e32 v3, v3, v63
	v_add_f32_e32 v32, v32, v34
	v_fmamk_f32 v34, v31, 0x3f737871, v21
	v_fmac_f32_e32 v21, 0xbf737871, v31
	v_add_f32_e32 v3, v3, v15
	v_fmac_f32_e32 v34, 0xbf167918, v11
	v_fmac_f32_e32 v21, 0x3f167918, v11
	v_add_f32_e32 v3, v3, v14
	v_sub_f32_e32 v11, v67, v14
	v_sub_f32_e32 v14, v63, v15
	v_sub_f32_e32 v15, v28, v33
	v_sub_f32_e32 v31, v7, v4
	v_add_f32_e32 v15, v15, v31
	v_add_f32_e32 v31, v33, v4
	v_fma_f32 v31, -0.5, v31, v1
	v_fmac_f32_e32 v34, 0x3e9e377a, v32
	v_fmac_f32_e32 v21, 0x3e9e377a, v32
	v_fmamk_f32 v32, v11, 0x3f737871, v31
	v_fmac_f32_e32 v31, 0xbf737871, v11
	v_fmac_f32_e32 v32, 0x3f167918, v14
	;; [unrolled: 1-line block ×5, first 2 shown]
	v_add_f32_e32 v15, v1, v28
	v_add_f32_e32 v54, v28, v7
	;; [unrolled: 1-line block ×3, first 2 shown]
	v_fmac_f32_e32 v1, -0.5, v54
	v_add_f32_e32 v15, v15, v4
	v_sub_f32_e32 v28, v33, v28
	v_add_f32_e32 v33, v15, v7
	v_sub_f32_e32 v4, v4, v7
	v_fmamk_f32 v7, v14, 0xbf737871, v1
	v_fmac_f32_e32 v1, 0x3f737871, v14
	v_add_f32_e32 v4, v28, v4
	v_fmac_f32_e32 v7, 0x3f167918, v11
	v_fmac_f32_e32 v1, 0xbf167918, v11
	;; [unrolled: 1-line block ×4, first 2 shown]
	v_sub_f32_e32 v4, v68, v9
	v_sub_f32_e32 v11, v23, v22
	v_add_f32_e32 v4, v4, v11
	v_add_f32_e32 v11, v9, v22
	v_fma_f32 v11, -0.5, v11, v35
	v_sub_f32_e32 v14, v8, v2
	v_fmamk_f32 v15, v14, 0xbf737871, v11
	v_sub_f32_e32 v28, v10, v5
	v_fmac_f32_e32 v11, 0x3f737871, v14
	v_fmac_f32_e32 v15, 0xbf167918, v28
	;; [unrolled: 1-line block ×5, first 2 shown]
	v_add_f32_e32 v4, v35, v68
	v_add_f32_e32 v54, v68, v23
	v_fmac_f32_e32 v35, -0.5, v54
	v_sub_f32_e32 v54, v9, v68
	v_sub_f32_e32 v56, v22, v23
	v_add_f32_e32 v4, v4, v9
	v_add_f32_e32 v54, v54, v56
	v_fmamk_f32 v56, v28, 0x3f737871, v35
	v_fmac_f32_e32 v35, 0xbf737871, v28
	v_add_f32_e32 v4, v4, v22
	v_fmac_f32_e32 v56, 0xbf167918, v14
	v_fmac_f32_e32 v35, 0x3f167918, v14
	v_add_f32_e32 v4, v4, v23
	v_sub_f32_e32 v14, v68, v23
	v_sub_f32_e32 v9, v9, v22
	v_sub_f32_e32 v22, v8, v10
	v_sub_f32_e32 v23, v2, v5
	v_add_f32_e32 v22, v22, v23
	v_add_f32_e32 v23, v10, v5
	v_fma_f32 v23, -0.5, v23, v65
	v_fmamk_f32 v28, v14, 0x3f737871, v23
	v_fmac_f32_e32 v23, 0xbf737871, v14
	v_fmac_f32_e32 v28, 0x3f167918, v9
	;; [unrolled: 1-line block ×5, first 2 shown]
	v_add_f32_e32 v22, v65, v8
	v_add_f32_e32 v22, v22, v10
	v_fmac_f32_e32 v56, 0x3e9e377a, v54
	v_fmac_f32_e32 v35, 0x3e9e377a, v54
	v_add_f32_e32 v54, v8, v2
	v_sub_f32_e32 v8, v10, v8
	v_add_f32_e32 v10, v22, v5
	v_fmac_f32_e32 v65, -0.5, v54
	v_add_f32_e32 v10, v10, v2
	v_sub_f32_e32 v2, v5, v2
	v_add_f32_e32 v2, v8, v2
	v_fmamk_f32 v8, v9, 0xbf737871, v65
	v_fmac_f32_e32 v65, 0x3f737871, v9
	v_fmac_f32_e32 v8, 0x3f167918, v14
	;; [unrolled: 1-line block ×5, first 2 shown]
	v_lshlrev_b32_e32 v2, 2, v40
	v_mul_u32_u24_e32 v9, 0x384, v36
	v_lshlrev_b32_e32 v5, 2, v55
	v_add3_u32 v9, 0, v9, v2
	v_mul_u32_u24_e32 v2, 0x384, v53
	ds_write2_b32 v25, v27, v20 offset0:90 offset1:135
	ds_write_b32 v25, v24 offset:720
	ds_write2_b32 v9, v3, v30 offset1:45
	ds_write2_b32 v9, v34, v21 offset0:90 offset1:135
	ds_write_b32 v9, v6 offset:720
	v_add3_u32 v6, 0, v2, v5
	ds_write2_b32 v6, v4, v15 offset1:45
	ds_write2_b32 v6, v56, v35 offset0:90 offset1:135
	ds_write_b32 v6, v11 offset:720
	s_waitcnt lgkmcnt(0)
	s_barrier
	ds_read2_b32 v[4:5], v44 offset1:135
	ds_read2_b32 v[2:3], v46 offset0:28 offset1:163
	ds_read2_b32 v[14:15], v19 offset0:70 offset1:205
	;; [unrolled: 1-line block ×5, first 2 shown]
	ds_read_b32 v36, v52
	ds_read_b32 v40, v51
	ds_read_b32 v53, v44 offset:7560
	s_waitcnt lgkmcnt(0)
	s_barrier
	ds_write2_b32 v25, v13, v29 offset1:45
	ds_write2_b32 v25, v12, v0 offset0:90 offset1:135
	ds_write_b32 v25, v26 offset:720
	ds_write2_b32 v9, v33, v32 offset1:45
	ds_write2_b32 v9, v7, v1 offset0:90 offset1:135
	ds_write_b32 v9, v31 offset:720
	;; [unrolled: 3-line block ×3, first 2 shown]
	v_mul_u32_u24_sdwa v0, v38, s2 dst_sel:DWORD dst_unused:UNUSED_PAD src0_sel:WORD_0 src1_sel:DWORD
	v_lshrrev_b32_e32 v0, 23, v0
	v_mul_lo_u16_e32 v0, 0xe1, v0
	v_sub_u16_e32 v60, v38, v0
	v_lshlrev_b32_e32 v0, 4, v60
	s_waitcnt lgkmcnt(0)
	s_barrier
	global_load_dwordx4 v[6:9], v0, s[4:5] offset:1776
	v_mul_u32_u24_sdwa v0, v39, s2 dst_sel:DWORD dst_unused:UNUSED_PAD src0_sel:WORD_0 src1_sel:DWORD
	v_lshrrev_b32_e32 v61, 23, v0
	v_mul_lo_u16_e32 v0, 0xe1, v61
	v_sub_u16_e32 v62, v39, v0
	v_lshlrev_b32_e32 v0, 4, v62
	global_load_dwordx4 v[10:13], v0, s[4:5] offset:1776
	v_lshlrev_b32_e32 v0, 1, v18
	v_mov_b32_e32 v1, 0
	v_lshl_add_u64 v[20:21], v[0:1], 3, s[4:5]
	v_add_u32_e32 v0, 0x5a, v0
	v_lshl_add_u64 v[22:23], v[0:1], 3, s[4:5]
	global_load_dwordx4 v[22:25], v[22:23], off offset:1776
	s_movk_i32 s2, 0x5a
	v_add_u32_e32 v0, 0xffffffa6, v18
	v_cmp_gt_u32_e32 vcc, s2, v18
	v_mov_b32_e32 v27, v1
	s_movk_i32 s2, 0x59
	v_cndmask_b32_e32 v0, v0, v37, vcc
	v_lshlrev_b32_e32 v26, 1, v0
	v_lshl_add_u64 v[58:59], v[26:27], 3, s[4:5]
	global_load_dwordx4 v[26:29], v[58:59], off offset:1776
	global_load_dwordx4 v[30:33], v[20:21], off offset:1776
	ds_read2_b32 v[58:59], v50 offset0:56 offset1:191
	ds_read_b32 v63, v44 offset:7560
	v_cmp_lt_u32_e32 vcc, s2, v18
	v_lshlrev_b32_e32 v0, 2, v0
	s_mov_b32 s2, 0x3f5db3d7
	s_waitcnt vmcnt(4) lgkmcnt(1)
	v_mul_f32_e32 v64, v59, v7
	v_mul_f32_e32 v7, v57, v7
	v_fmac_f32_e32 v64, v57, v6
	v_fma_f32 v57, v59, v6, -v7
	ds_read2_b32 v[6:7], v47 offset0:84 offset1:219
	s_waitcnt lgkmcnt(1)
	v_mul_f32_e32 v65, v63, v9
	v_mul_f32_e32 v9, v53, v9
	v_fmac_f32_e32 v65, v53, v8
	v_fma_f32 v53, v63, v8, -v9
	s_waitcnt vmcnt(3)
	v_mul_f32_e32 v59, v58, v11
	v_mul_f32_e32 v8, v56, v11
	v_fmac_f32_e32 v59, v56, v10
	v_fma_f32 v56, v58, v10, -v8
	v_mul_f32_e32 v8, v55, v13
	s_waitcnt lgkmcnt(0)
	v_mul_f32_e32 v58, v7, v13
	v_fma_f32 v13, v7, v12, -v8
	ds_read2_b32 v[8:9], v45 offset0:42 offset1:177
	v_fmac_f32_e32 v58, v55, v12
	s_waitcnt vmcnt(2)
	v_mul_f32_e32 v55, v6, v25
	v_mul_f32_e32 v7, v54, v25
	v_fmac_f32_e32 v55, v54, v24
	v_fma_f32 v54, v6, v24, -v7
	s_waitcnt lgkmcnt(0)
	v_mul_f32_e32 v63, v9, v23
	v_mul_f32_e32 v6, v35, v23
	ds_read2_b32 v[24:25], v46 offset0:28 offset1:163
	v_fmac_f32_e32 v63, v35, v22
	v_fma_f32 v35, v9, v22, -v6
	ds_read2_b32 v[6:7], v19 offset0:70 offset1:205
	s_waitcnt vmcnt(1)
	v_mul_f32_e32 v66, v8, v27
	v_mul_f32_e32 v9, v34, v27
	v_fmac_f32_e32 v66, v34, v26
	v_fma_f32 v26, v8, v26, -v9
	v_mul_f32_e32 v8, v15, v29
	s_waitcnt vmcnt(0) lgkmcnt(1)
	v_mul_f32_e32 v10, v25, v31
	s_waitcnt lgkmcnt(0)
	v_mul_f32_e32 v27, v7, v29
	v_fma_f32 v34, v7, v28, -v8
	v_mul_f32_e32 v7, v6, v33
	v_mul_f32_e32 v8, v14, v33
	v_fmac_f32_e32 v10, v3, v30
	v_fmac_f32_e32 v7, v14, v32
	v_fma_f32 v6, v6, v32, -v8
	v_mul_f32_e32 v3, v3, v31
	v_add_f32_e32 v8, v4, v10
	v_fma_f32 v3, v25, v30, -v3
	v_add_f32_e32 v11, v8, v7
	v_add_f32_e32 v8, v10, v7
	v_fma_f32 v4, -0.5, v8, v4
	v_sub_f32_e32 v12, v3, v6
	v_fmamk_f32 v14, v12, 0xbf5db3d7, v4
	v_fmac_f32_e32 v4, 0x3f5db3d7, v12
	v_fmac_f32_e32 v27, v15, v28
	ds_read_b32 v25, v51
	ds_read_b32 v30, v52
	ds_read2_b32 v[8:9], v44 offset1:135
	s_waitcnt lgkmcnt(0)
	s_barrier
	ds_write_b32 v44, v4 offset:1800
	v_mov_b32_e32 v4, 0xa8c
	ds_write2_b32 v44, v11, v14 offset1:225
	v_add_f32_e32 v11, v5, v66
	v_add_f32_e32 v12, v66, v27
	v_cndmask_b32_e32 v4, 0, v4, vcc
	v_fmac_f32_e32 v5, -0.5, v12
	v_add3_u32 v0, 0, v4, v0
	v_add_f32_e32 v4, v11, v27
	v_sub_f32_e32 v11, v26, v34
	v_fmamk_f32 v12, v11, 0xbf5db3d7, v5
	v_fmac_f32_e32 v5, 0x3f5db3d7, v11
	ds_write_b32 v0, v5 offset:1800
	v_add_f32_e32 v5, v63, v55
	ds_write2_b32 v0, v4, v12 offset1:225
	v_add_f32_e32 v4, v40, v63
	v_fmac_f32_e32 v40, -0.5, v5
	v_sub_f32_e32 v5, v35, v54
	v_lshl_add_u32 v31, v18, 2, 0
	v_add_f32_e32 v4, v4, v55
	v_fmamk_f32 v11, v5, 0xbf5db3d7, v40
	v_add_u32_e32 v32, 0xb00, v31
	v_fmac_f32_e32 v40, 0x3f5db3d7, v5
	v_add_f32_e32 v5, v59, v58
	ds_write2_b32 v32, v4, v11 offset0:16 offset1:241
	v_add_f32_e32 v4, v36, v59
	v_fmac_f32_e32 v36, -0.5, v5
	v_mul_u32_u24_e32 v5, 0xa8c, v61
	v_lshlrev_b32_e32 v11, 2, v62
	v_add3_u32 v5, 0, v5, v11
	v_sub_f32_e32 v11, v56, v13
	v_add_f32_e32 v4, v4, v58
	v_fmamk_f32 v12, v11, 0xbf5db3d7, v36
	v_fmac_f32_e32 v36, 0x3f5db3d7, v11
	v_add_f32_e32 v11, v64, v65
	ds_write_b32 v31, v40 offset:4680
	ds_write2_b32 v5, v4, v12 offset1:225
	v_add_f32_e32 v4, v2, v64
	v_fmac_f32_e32 v2, -0.5, v11
	v_sub_f32_e32 v11, v57, v53
	v_lshl_add_u32 v33, v60, 2, 0
	v_fmamk_f32 v12, v11, 0xbf5db3d7, v2
	v_fmac_f32_e32 v2, 0x3f5db3d7, v11
	ds_write_b32 v5, v36 offset:1800
	ds_write_b32 v33, v2 offset:7200
	v_add_f32_e32 v2, v8, v3
	v_add_f32_e32 v4, v4, v65
	v_add_u32_e32 v36, 0x1500, v33
	v_add_f32_e32 v40, v2, v6
	v_add_f32_e32 v2, v3, v6
	ds_write2_b32 v36, v4, v12 offset0:6 offset1:231
	v_sub_f32_e32 v60, v10, v7
	v_fma_f32 v61, -0.5, v2, v8
	s_waitcnt lgkmcnt(0)
	s_barrier
	ds_read2_b32 v[22:23], v44 offset1:135
	ds_read2_b32 v[2:3], v46 offset0:28 offset1:163
	ds_read2_b32 v[28:29], v19 offset0:70 offset1:205
	;; [unrolled: 1-line block ×5, first 2 shown]
	ds_read_b32 v8, v52
	ds_read_b32 v12, v51
	ds_read_b32 v4, v44 offset:7560
	v_fmamk_f32 v51, v60, 0x3f5db3d7, v61
	s_waitcnt lgkmcnt(0)
	s_barrier
	ds_write2_b32 v44, v40, v51 offset1:225
	v_add_f32_e32 v40, v9, v26
	v_add_f32_e32 v26, v26, v34
	v_fmac_f32_e32 v9, -0.5, v26
	v_sub_f32_e32 v26, v66, v27
	v_fmac_f32_e32 v61, 0xbf5db3d7, v60
	v_fmamk_f32 v27, v26, 0x3f5db3d7, v9
	v_fmac_f32_e32 v9, 0xbf5db3d7, v26
	v_add_f32_e32 v40, v40, v34
	ds_write_b32 v44, v61 offset:1800
	ds_write_b32 v0, v9 offset:1800
	v_add_f32_e32 v9, v35, v54
	ds_write2_b32 v0, v40, v27 offset1:225
	v_add_f32_e32 v0, v25, v35
	v_fmac_f32_e32 v25, -0.5, v9
	v_sub_f32_e32 v9, v63, v55
	v_fmamk_f32 v26, v9, 0x3f5db3d7, v25
	v_fmac_f32_e32 v25, 0xbf5db3d7, v9
	v_add_f32_e32 v9, v30, v56
	v_add_f32_e32 v9, v9, v13
	;; [unrolled: 1-line block ×3, first 2 shown]
	v_fmac_f32_e32 v30, -0.5, v13
	v_sub_f32_e32 v13, v59, v58
	v_add_f32_e32 v34, v57, v53
	v_add_f32_e32 v0, v0, v54
	v_fmamk_f32 v27, v13, 0x3f5db3d7, v30
	v_fmac_f32_e32 v30, 0xbf5db3d7, v13
	v_add_f32_e32 v13, v24, v57
	v_fmac_f32_e32 v24, -0.5, v34
	v_sub_f32_e32 v34, v64, v65
	v_add_f32_e32 v13, v13, v53
	v_fmamk_f32 v35, v34, 0x3f5db3d7, v24
	v_fmac_f32_e32 v24, 0xbf5db3d7, v34
	ds_write2_b32 v32, v0, v26 offset0:16 offset1:241
	ds_write_b32 v31, v25 offset:4680
	ds_write2_b32 v5, v9, v27 offset1:225
	ds_write_b32 v5, v30 offset:1800
	ds_write2_b32 v36, v13, v35 offset0:6 offset1:231
	ds_write_b32 v33, v24 offset:7200
	s_waitcnt lgkmcnt(0)
	s_barrier
	s_and_saveexec_b64 s[6:7], s[0:1]
	s_cbranch_execz .LBB0_13
; %bb.12:
	v_add_co_u32_e32 v20, vcc, s3, v20
	v_lshlrev_b32_e32 v0, 1, v38
	s_nop 0
	v_addc_co_u32_e32 v21, vcc, 0, v21, vcc
	global_load_dwordx4 v[30:33], v[20:21], off offset:1280
	v_lshl_add_u64 v[24:25], v[0:1], 3, s[4:5]
	v_lshlrev_b32_e32 v0, 1, v39
	v_lshl_add_u64 v[52:53], v[0:1], 3, s[4:5]
	v_lshlrev_b32_e32 v0, 1, v41
	;; [unrolled: 2-line block ×3, first 2 shown]
	v_lshl_add_u64 v[20:21], v[0:1], 3, s[4:5]
	v_add_co_u32_e32 v20, vcc, s3, v20
	v_sub_u32_e32 v5, 0, v48
	s_nop 0
	v_addc_co_u32_e32 v21, vcc, 0, v21, vcc
	global_load_dwordx4 v[34:37], v[20:21], off offset:1280
	ds_read2_b32 v[56:57], v46 offset0:28 offset1:163
	ds_read2_b32 v[20:21], v50 offset0:56 offset1:191
	;; [unrolled: 1-line block ×4, first 2 shown]
	ds_read2_b32 v[58:59], v44 offset1:135
	ds_read2_b32 v[60:61], v19 offset0:70 offset1:205
	v_add_co_u32_e32 v46, vcc, s3, v54
	v_sub_u32_e32 v9, 0, v49
	s_nop 0
	v_addc_co_u32_e32 v47, vcc, 0, v55, vcc
	global_load_dwordx4 v[46:49], v[46:47], off offset:1280
	v_mov_b32_e32 v19, v1
	v_lshl_add_u64 v[18:19], v[18:19], 3, v[16:17]
	s_movk_i32 s0, 0x2000
	v_mov_b32_e32 v0, v3
	v_mov_b32_e32 v40, v3
	v_add_u32_e32 v3, v43, v9
	v_add_u32_e32 v5, v42, v5
	ds_read_b32 v42, v44 offset:7560
	ds_read_b32 v9, v3
	ds_read_b32 v13, v5
	s_waitcnt lgkmcnt(8)
	v_mov_b32_e32 v44, v57
	v_mov_b32_e32 v62, v22
	;; [unrolled: 1-line block ×4, first 2 shown]
	s_waitcnt lgkmcnt(4)
	v_mov_b32_e32 v63, v58
	v_mov_b32_e32 v58, v23
	s_mov_b32 s1, 0xc22e4507
	s_movk_i32 s4, 0x546
	v_mov_b32_e32 v3, v56
	s_waitcnt vmcnt(2) lgkmcnt(3)
	v_pk_mul_f32 v[54:55], v[60:61], v[32:33] op_sel_hi:[0,1]
	v_pk_fma_f32 v[68:69], v[28:29], v[32:33], v[54:55] op_sel:[0,0,1] op_sel_hi:[1,1,0]
	v_pk_fma_f32 v[32:33], v[28:29], v[32:33], v[54:55] op_sel:[0,0,1] op_sel_hi:[0,1,0] neg_lo:[1,0,0] neg_hi:[1,0,0]
	v_add_co_u32_e32 v54, vcc, s3, v18
	v_pk_mul_f32 v[44:45], v[44:45], v[30:31] op_sel_hi:[0,1]
	s_nop 0
	v_addc_co_u32_e32 v55, vcc, 0, v19, vcc
	v_add_co_u32_e32 v70, vcc, s0, v18
	v_pk_fma_f32 v[66:67], v[0:1], v[30:31], v[44:45] op_sel:[0,0,1] op_sel_hi:[1,1,0]
	s_nop 0
	v_addc_co_u32_e32 v71, vcc, 0, v19, vcc
	v_pk_fma_f32 v[44:45], v[40:41], v[30:31], v[44:45] op_sel:[0,0,1] op_sel_hi:[0,1,0] neg_lo:[1,0,0] neg_hi:[1,0,0]
	v_add_co_u32_e32 v28, vcc, s3, v52
	v_mov_b32_e32 v67, v45
	s_nop 0
	v_addc_co_u32_e32 v29, vcc, 0, v53, vcc
	v_mov_b32_e32 v69, v33
	global_load_dwordx4 v[28:31], v[28:29], off offset:1280
	v_pk_add_f32 v[32:33], v[62:63], v[66:67]
	v_pk_add_f32 v[44:45], v[66:67], v[68:69]
	v_pk_add_f32 v[52:53], v[66:67], v[68:69] neg_lo:[0,1] neg_hi:[0,1]
	v_pk_add_f32 v[32:33], v[32:33], v[68:69]
	v_pk_fma_f32 v[44:45], v[44:45], 0.5, v[62:63] op_sel_hi:[1,0,1] neg_lo:[1,0,0] neg_hi:[1,0,0]
	v_pk_mul_f32 v[52:53], v[52:53], s[2:3] op_sel_hi:[1,0]
	v_mov_b32_e32 v0, v61
	global_store_dwordx2 v[18:19], v[32:33], off
	v_pk_add_f32 v[32:33], v[44:45], v[52:53] op_sel:[0,1] op_sel_hi:[1,0] neg_lo:[0,1] neg_hi:[0,1]
	v_pk_add_f32 v[44:45], v[44:45], v[52:53] op_sel:[0,1] op_sel_hi:[1,0]
	s_waitcnt vmcnt(3)
	v_pk_mul_f32 v[52:53], v[50:51], v[34:35] op_sel_hi:[0,1]
	v_pk_mul_f32 v[60:61], v[0:1], v[36:37] op_sel_hi:[0,1]
	v_mov_b32_e32 v62, v32
	v_mov_b32_e32 v63, v45
	;; [unrolled: 1-line block ×3, first 2 shown]
	v_pk_fma_f32 v[32:33], v[14:15], v[34:35], v[52:53] op_sel:[0,0,1] op_sel_hi:[1,1,0]
	v_pk_fma_f32 v[34:35], v[14:15], v[34:35], v[52:53] op_sel:[0,0,1] op_sel_hi:[0,1,0] neg_lo:[1,0,0] neg_hi:[1,0,0]
	v_pk_fma_f32 v[52:53], v[22:23], v[36:37], v[60:61] op_sel:[0,0,1] op_sel_hi:[1,1,0]
	v_pk_fma_f32 v[36:37], v[64:65], v[36:37], v[60:61] op_sel:[0,0,1] op_sel_hi:[0,1,0] neg_lo:[1,0,0] neg_hi:[1,0,0]
	v_mov_b32_e32 v33, v35
	v_mov_b32_e32 v53, v37
	v_pk_add_f32 v[22:23], v[58:59], v[32:33]
	global_store_dwordx2 v[54:55], v[62:63], off offset:1304
	global_store_dwordx2 v[70:71], v[44:45], off offset:2608
	v_pk_add_f32 v[22:23], v[22:23], v[52:53]
	global_store_dwordx2 v[18:19], v[22:23], off offset:1080
	v_pk_add_f32 v[22:23], v[32:33], v[52:53]
	v_pk_add_f32 v[32:33], v[32:33], v[52:53] neg_lo:[0,1] neg_hi:[0,1]
	v_pk_fma_f32 v[22:23], v[22:23], 0.5, v[58:59] op_sel_hi:[1,0,1] neg_lo:[1,0,0] neg_hi:[1,0,0]
	v_pk_mul_f32 v[32:33], v[32:33], s[2:3] op_sel_hi:[1,0]
	v_mul_hi_u32 v0, v41, s1
	v_pk_add_f32 v[34:35], v[22:23], v[32:33] op_sel:[0,1] op_sel_hi:[1,0] neg_lo:[0,1] neg_hi:[0,1]
	v_pk_add_f32 v[22:23], v[22:23], v[32:33] op_sel:[0,1] op_sel_hi:[1,0]
	v_lshrrev_b32_e32 v0, 9, v0
	v_mov_b32_e32 v33, v23
	v_mov_b32_e32 v23, v35
	global_store_dwordx2 v[70:71], v[22:23], off offset:3688
	v_add_co_u32_e32 v22, vcc, s3, v24
	v_mov_b32_e32 v32, v34
	s_nop 0
	v_addc_co_u32_e32 v23, vcc, 0, v25, vcc
	global_load_dwordx4 v[22:25], v[22:23], off offset:1280
	v_mul_u32_u24_e32 v0, 0x546, v0
	global_store_dwordx2 v[54:55], v[32:33], off offset:2384
	v_lshl_add_u64 v[32:33], v[0:1], 3, v[18:19]
	v_mov_b32_e32 v0, v51
	s_waitcnt vmcnt(8)
	v_pk_mul_f32 v[34:35], v[0:1], v[46:47] op_sel_hi:[0,1]
	v_mov_b32_e32 v0, v15
	v_pk_fma_f32 v[36:37], v[0:1], v[46:47], v[34:35] op_sel:[0,0,1] op_sel_hi:[1,1,0]
	v_pk_fma_f32 v[14:15], v[0:1], v[46:47], v[34:35] op_sel:[0,0,1] op_sel_hi:[0,1,0] neg_lo:[1,0,0] neg_hi:[1,0,0]
	v_mov_b32_e32 v37, v15
	v_pk_mul_f32 v[14:15], v[26:27], v[48:49] op_sel_hi:[0,1]
	v_pk_fma_f32 v[34:35], v[10:11], v[48:49], v[14:15] op_sel:[0,0,1] op_sel_hi:[1,1,0]
	v_pk_fma_f32 v[14:15], v[10:11], v[48:49], v[14:15] op_sel:[0,0,1] op_sel_hi:[0,1,0] neg_lo:[1,0,0] neg_hi:[1,0,0]
	v_mov_b32_e32 v35, v15
	s_waitcnt lgkmcnt(0)
	v_pk_add_f32 v[14:15], v[12:13], v[36:37]
	v_mul_hi_u32 v0, v39, s1
	v_pk_add_f32 v[14:15], v[14:15], v[34:35]
	global_store_dwordx2 v[32:33], v[14:15], off offset:2160
	v_pk_add_f32 v[14:15], v[36:37], v[34:35]
	v_lshrrev_b32_e32 v0, 9, v0
	v_pk_fma_f32 v[12:13], v[14:15], 0.5, v[12:13] op_sel_hi:[1,0,1] neg_lo:[1,0,0] neg_hi:[1,0,0]
	v_pk_add_f32 v[14:15], v[36:37], v[34:35] neg_lo:[0,1] neg_hi:[0,1]
	v_add_co_u32_e32 v36, vcc, s3, v32
	v_pk_mul_f32 v[14:15], v[14:15], s[2:3] op_sel_hi:[1,0]
	s_nop 0
	v_addc_co_u32_e32 v37, vcc, 0, v33, vcc
	v_pk_add_f32 v[34:35], v[12:13], v[14:15] op_sel:[0,1] op_sel_hi:[1,0] neg_lo:[0,1] neg_hi:[0,1]
	v_pk_add_f32 v[12:13], v[12:13], v[14:15] op_sel:[0,1] op_sel_hi:[1,0]
	v_mov_b32_e32 v14, v34
	v_mov_b32_e32 v15, v13
	s_movk_i32 s3, 0x3000
	global_store_dwordx2 v[36:37], v[14:15], off offset:3464
	v_add_co_u32_e32 v14, vcc, s3, v32
	v_mov_b32_e32 v13, v35
	s_nop 0
	v_addc_co_u32_e32 v15, vcc, 0, v33, vcc
	global_store_dwordx2 v[14:15], v[12:13], off offset:672
	v_mul_u32_u24_e32 v0, 0x546, v0
	s_waitcnt vmcnt(10)
	v_pk_mul_f32 v[14:15], v[20:21], v[28:29] op_sel_hi:[0,1]
	v_lshl_add_u64 v[12:13], v[0:1], 3, v[18:19]
	v_pk_fma_f32 v[18:19], v[6:7], v[28:29], v[14:15] op_sel:[0,0,1] op_sel_hi:[1,1,0]
	v_pk_fma_f32 v[14:15], v[6:7], v[28:29], v[14:15] op_sel:[0,0,1] op_sel_hi:[0,1,0] neg_lo:[1,0,0] neg_hi:[1,0,0]
	v_mov_b32_e32 v0, v27
	v_mov_b32_e32 v19, v15
	v_pk_mul_f32 v[14:15], v[0:1], v[30:31] op_sel_hi:[0,1]
	v_mov_b32_e32 v0, v11
	v_pk_fma_f32 v[26:27], v[0:1], v[30:31], v[14:15] op_sel:[0,0,1] op_sel_hi:[1,1,0]
	v_pk_fma_f32 v[10:11], v[0:1], v[30:31], v[14:15] op_sel:[0,0,1] op_sel_hi:[0,1,0] neg_lo:[1,0,0] neg_hi:[1,0,0]
	v_mov_b32_e32 v27, v11
	v_pk_add_f32 v[10:11], v[8:9], v[18:19]
	v_mov_b32_e32 v6, v21
	v_pk_add_f32 v[10:11], v[10:11], v[26:27]
	global_store_dwordx2 v[12:13], v[10:11], off offset:3240
	v_pk_add_f32 v[10:11], v[18:19], v[26:27]
	v_mul_hi_u32 v0, v38, s1
	v_pk_fma_f32 v[8:9], v[10:11], 0.5, v[8:9] op_sel_hi:[1,0,1] neg_lo:[1,0,0] neg_hi:[1,0,0]
	v_pk_add_f32 v[10:11], v[18:19], v[26:27] neg_lo:[0,1] neg_hi:[0,1]
	v_add_co_u32_e32 v18, vcc, s0, v12
	v_pk_mul_f32 v[10:11], v[10:11], s[2:3] op_sel_hi:[1,0]
	s_nop 0
	v_addc_co_u32_e32 v19, vcc, 0, v13, vcc
	v_pk_add_f32 v[14:15], v[8:9], v[10:11] op_sel:[0,1] op_sel_hi:[1,0] neg_lo:[0,1] neg_hi:[0,1]
	v_pk_add_f32 v[8:9], v[8:9], v[10:11] op_sel:[0,1] op_sel_hi:[1,0]
	v_mov_b32_e32 v10, v14
	v_mov_b32_e32 v11, v9
	global_store_dwordx2 v[18:19], v[10:11], off offset:448
	v_add_co_u32_e32 v10, vcc, s3, v12
	v_mov_b32_e32 v9, v15
	s_nop 0
	v_addc_co_u32_e32 v11, vcc, 0, v13, vcc
	global_store_dwordx2 v[10:11], v[8:9], off offset:1752
	v_lshrrev_b32_e32 v0, 9, v0
	v_mad_u32_u24 v0, v0, s4, v38
	v_lshl_add_u64 v[0:1], v[0:1], 3, v[16:17]
	s_waitcnt vmcnt(7)
	v_pk_mul_f32 v[8:9], v[6:7], v[22:23] op_sel_hi:[0,1]
	v_mov_b32_e32 v6, v7
	v_pk_fma_f32 v[10:11], v[6:7], v[22:23], v[8:9] op_sel:[0,0,1] op_sel_hi:[1,1,0]
	v_pk_fma_f32 v[6:7], v[6:7], v[22:23], v[8:9] op_sel:[0,0,1] op_sel_hi:[0,1,0] neg_lo:[1,0,0] neg_hi:[1,0,0]
	v_mov_b32_e32 v11, v7
	v_pk_mul_f32 v[6:7], v[42:43], v[24:25] op_sel_hi:[0,1]
	v_pk_fma_f32 v[8:9], v[4:5], v[24:25], v[6:7] op_sel:[0,0,1] op_sel_hi:[1,1,0]
	v_pk_fma_f32 v[4:5], v[4:5], v[24:25], v[6:7] op_sel:[0,0,1] op_sel_hi:[0,1,0] neg_lo:[1,0,0] neg_hi:[1,0,0]
	v_mov_b32_e32 v9, v5
	v_pk_add_f32 v[4:5], v[2:3], v[10:11]
	s_nop 0
	v_pk_add_f32 v[4:5], v[4:5], v[8:9]
	global_store_dwordx2 v[0:1], v[4:5], off
	v_pk_add_f32 v[4:5], v[10:11], v[8:9]
	s_nop 0
	v_pk_fma_f32 v[2:3], v[4:5], 0.5, v[2:3] op_sel_hi:[1,0,1] neg_lo:[1,0,0] neg_hi:[1,0,0]
	v_pk_add_f32 v[4:5], v[10:11], v[8:9] neg_lo:[0,1] neg_hi:[0,1]
	v_add_co_u32_e32 v8, vcc, 0x1000, v0
	v_pk_mul_f32 v[4:5], v[4:5], s[2:3] op_sel_hi:[1,0]
	s_nop 0
	v_addc_co_u32_e32 v9, vcc, 0, v1, vcc
	v_pk_add_f32 v[6:7], v[2:3], v[4:5] op_sel:[0,1] op_sel_hi:[1,0] neg_lo:[0,1] neg_hi:[0,1]
	v_pk_add_f32 v[2:3], v[2:3], v[4:5] op_sel:[0,1] op_sel_hi:[1,0]
	v_add_co_u32_e32 v0, vcc, 0x2000, v0
	v_mov_b32_e32 v4, v6
	v_mov_b32_e32 v5, v3
	;; [unrolled: 1-line block ×3, first 2 shown]
	v_addc_co_u32_e32 v1, vcc, 0, v1, vcc
	global_store_dwordx2 v[8:9], v[4:5], off offset:1304
	global_store_dwordx2 v[0:1], v[2:3], off offset:2608
.LBB0_13:
	s_endpgm
	.section	.rodata,"a",@progbits
	.p2align	6, 0x0
	.amdhsa_kernel fft_rtc_back_len2025_factors_3_3_5_5_3_3_wgs_135_tpt_135_halfLds_sp_ip_CI_unitstride_sbrr_dirReg
		.amdhsa_group_segment_fixed_size 0
		.amdhsa_private_segment_fixed_size 0
		.amdhsa_kernarg_size 88
		.amdhsa_user_sgpr_count 2
		.amdhsa_user_sgpr_dispatch_ptr 0
		.amdhsa_user_sgpr_queue_ptr 0
		.amdhsa_user_sgpr_kernarg_segment_ptr 1
		.amdhsa_user_sgpr_dispatch_id 0
		.amdhsa_user_sgpr_kernarg_preload_length 0
		.amdhsa_user_sgpr_kernarg_preload_offset 0
		.amdhsa_user_sgpr_private_segment_size 0
		.amdhsa_uses_dynamic_stack 0
		.amdhsa_enable_private_segment 0
		.amdhsa_system_sgpr_workgroup_id_x 1
		.amdhsa_system_sgpr_workgroup_id_y 0
		.amdhsa_system_sgpr_workgroup_id_z 0
		.amdhsa_system_sgpr_workgroup_info 0
		.amdhsa_system_vgpr_workitem_id 0
		.amdhsa_next_free_vgpr 75
		.amdhsa_next_free_sgpr 22
		.amdhsa_accum_offset 76
		.amdhsa_reserve_vcc 1
		.amdhsa_float_round_mode_32 0
		.amdhsa_float_round_mode_16_64 0
		.amdhsa_float_denorm_mode_32 3
		.amdhsa_float_denorm_mode_16_64 3
		.amdhsa_dx10_clamp 1
		.amdhsa_ieee_mode 1
		.amdhsa_fp16_overflow 0
		.amdhsa_tg_split 0
		.amdhsa_exception_fp_ieee_invalid_op 0
		.amdhsa_exception_fp_denorm_src 0
		.amdhsa_exception_fp_ieee_div_zero 0
		.amdhsa_exception_fp_ieee_overflow 0
		.amdhsa_exception_fp_ieee_underflow 0
		.amdhsa_exception_fp_ieee_inexact 0
		.amdhsa_exception_int_div_zero 0
	.end_amdhsa_kernel
	.text
.Lfunc_end0:
	.size	fft_rtc_back_len2025_factors_3_3_5_5_3_3_wgs_135_tpt_135_halfLds_sp_ip_CI_unitstride_sbrr_dirReg, .Lfunc_end0-fft_rtc_back_len2025_factors_3_3_5_5_3_3_wgs_135_tpt_135_halfLds_sp_ip_CI_unitstride_sbrr_dirReg
                                        ; -- End function
	.section	.AMDGPU.csdata,"",@progbits
; Kernel info:
; codeLenInByte = 9948
; NumSgprs: 28
; NumVgprs: 75
; NumAgprs: 0
; TotalNumVgprs: 75
; ScratchSize: 0
; MemoryBound: 0
; FloatMode: 240
; IeeeMode: 1
; LDSByteSize: 0 bytes/workgroup (compile time only)
; SGPRBlocks: 3
; VGPRBlocks: 9
; NumSGPRsForWavesPerEU: 28
; NumVGPRsForWavesPerEU: 75
; AccumOffset: 76
; Occupancy: 6
; WaveLimiterHint : 1
; COMPUTE_PGM_RSRC2:SCRATCH_EN: 0
; COMPUTE_PGM_RSRC2:USER_SGPR: 2
; COMPUTE_PGM_RSRC2:TRAP_HANDLER: 0
; COMPUTE_PGM_RSRC2:TGID_X_EN: 1
; COMPUTE_PGM_RSRC2:TGID_Y_EN: 0
; COMPUTE_PGM_RSRC2:TGID_Z_EN: 0
; COMPUTE_PGM_RSRC2:TIDIG_COMP_CNT: 0
; COMPUTE_PGM_RSRC3_GFX90A:ACCUM_OFFSET: 18
; COMPUTE_PGM_RSRC3_GFX90A:TG_SPLIT: 0
	.text
	.p2alignl 6, 3212836864
	.fill 256, 4, 3212836864
	.type	__hip_cuid_faaef53e748d2abb,@object ; @__hip_cuid_faaef53e748d2abb
	.section	.bss,"aw",@nobits
	.globl	__hip_cuid_faaef53e748d2abb
__hip_cuid_faaef53e748d2abb:
	.byte	0                               ; 0x0
	.size	__hip_cuid_faaef53e748d2abb, 1

	.ident	"AMD clang version 19.0.0git (https://github.com/RadeonOpenCompute/llvm-project roc-6.4.0 25133 c7fe45cf4b819c5991fe208aaa96edf142730f1d)"
	.section	".note.GNU-stack","",@progbits
	.addrsig
	.addrsig_sym __hip_cuid_faaef53e748d2abb
	.amdgpu_metadata
---
amdhsa.kernels:
  - .agpr_count:     0
    .args:
      - .actual_access:  read_only
        .address_space:  global
        .offset:         0
        .size:           8
        .value_kind:     global_buffer
      - .offset:         8
        .size:           8
        .value_kind:     by_value
      - .actual_access:  read_only
        .address_space:  global
        .offset:         16
        .size:           8
        .value_kind:     global_buffer
      - .actual_access:  read_only
        .address_space:  global
        .offset:         24
        .size:           8
        .value_kind:     global_buffer
      - .offset:         32
        .size:           8
        .value_kind:     by_value
      - .actual_access:  read_only
        .address_space:  global
        .offset:         40
        .size:           8
        .value_kind:     global_buffer
      - .actual_access:  read_only
        .address_space:  global
        .offset:         48
        .size:           8
        .value_kind:     global_buffer
      - .offset:         56
        .size:           4
        .value_kind:     by_value
      - .actual_access:  read_only
        .address_space:  global
        .offset:         64
        .size:           8
        .value_kind:     global_buffer
      - .actual_access:  read_only
        .address_space:  global
        .offset:         72
        .size:           8
        .value_kind:     global_buffer
      - .address_space:  global
        .offset:         80
        .size:           8
        .value_kind:     global_buffer
    .group_segment_fixed_size: 0
    .kernarg_segment_align: 8
    .kernarg_segment_size: 88
    .language:       OpenCL C
    .language_version:
      - 2
      - 0
    .max_flat_workgroup_size: 135
    .name:           fft_rtc_back_len2025_factors_3_3_5_5_3_3_wgs_135_tpt_135_halfLds_sp_ip_CI_unitstride_sbrr_dirReg
    .private_segment_fixed_size: 0
    .sgpr_count:     28
    .sgpr_spill_count: 0
    .symbol:         fft_rtc_back_len2025_factors_3_3_5_5_3_3_wgs_135_tpt_135_halfLds_sp_ip_CI_unitstride_sbrr_dirReg.kd
    .uniform_work_group_size: 1
    .uses_dynamic_stack: false
    .vgpr_count:     75
    .vgpr_spill_count: 0
    .wavefront_size: 64
amdhsa.target:   amdgcn-amd-amdhsa--gfx950
amdhsa.version:
  - 1
  - 2
...

	.end_amdgpu_metadata
